;; amdgpu-corpus repo=ROCm/rocFFT kind=compiled arch=gfx906 opt=O3
	.text
	.amdgcn_target "amdgcn-amd-amdhsa--gfx906"
	.amdhsa_code_object_version 6
	.protected	bluestein_single_fwd_len1936_dim1_dp_op_CI_CI ; -- Begin function bluestein_single_fwd_len1936_dim1_dp_op_CI_CI
	.globl	bluestein_single_fwd_len1936_dim1_dp_op_CI_CI
	.p2align	8
	.type	bluestein_single_fwd_len1936_dim1_dp_op_CI_CI,@function
bluestein_single_fwd_len1936_dim1_dp_op_CI_CI: ; @bluestein_single_fwd_len1936_dim1_dp_op_CI_CI
; %bb.0:
	s_load_dwordx4 s[12:15], s[4:5], 0x28
	v_mul_u32_u24_e32 v1, 0x175, v0
	v_add_u32_sdwa v184, s6, v1 dst_sel:DWORD dst_unused:UNUSED_PAD src0_sel:DWORD src1_sel:WORD_1
	v_mov_b32_e32 v185, 0
	s_waitcnt lgkmcnt(0)
	v_cmp_gt_u64_e32 vcc, s[12:13], v[184:185]
	s_and_saveexec_b64 s[0:1], vcc
	s_cbranch_execz .LBB0_31
; %bb.1:
	s_load_dwordx4 s[0:3], s[4:5], 0x18
	s_load_dwordx2 s[16:17], s[4:5], 0x0
	s_waitcnt lgkmcnt(0)
	s_load_dwordx4 s[8:11], s[0:1], 0x0
	s_movk_i32 s0, 0xb0
	v_mul_lo_u16_sdwa v1, v1, s0 dst_sel:DWORD dst_unused:UNUSED_PAD src0_sel:WORD_1 src1_sel:DWORD
	v_sub_u16_e32 v188, v0, v1
	v_lshlrev_b32_e32 v185, 4, v188
	s_waitcnt lgkmcnt(0)
	v_mad_u64_u32 v[0:1], s[0:1], s10, v184, 0
	v_mad_u64_u32 v[2:3], s[0:1], s8, v188, 0
	v_add_co_u32_e64 v186, s[6:7], s16, v185
	v_mad_u64_u32 v[4:5], s[0:1], s11, v184, v[1:2]
	v_mad_u64_u32 v[5:6], s[0:1], s9, v188, v[3:4]
	v_mov_b32_e32 v1, v4
	v_lshlrev_b64 v[0:1], 4, v[0:1]
	v_mov_b32_e32 v6, s15
	v_mov_b32_e32 v3, v5
	v_add_co_u32_e32 v4, vcc, s14, v0
	v_addc_co_u32_e32 v5, vcc, v6, v1, vcc
	v_lshlrev_b64 v[0:1], 4, v[2:3]
	s_mul_i32 s0, s9, 0x3c8
	s_mul_hi_u32 s1, s8, 0x3c8
	v_add_co_u32_e32 v0, vcc, v4, v0
	v_mov_b32_e32 v2, s17
	s_add_i32 s1, s1, s0
	s_mul_i32 s0, s8, 0x3c8
	v_addc_co_u32_e32 v1, vcc, v5, v1, vcc
	v_addc_co_u32_e64 v187, vcc, 0, v2, s[6:7]
	s_lshl_b64 s[14:15], s[0:1], 4
	v_mov_b32_e32 v41, s15
	v_add_co_u32_e32 v4, vcc, s14, v0
	v_addc_co_u32_e32 v5, vcc, v1, v41, vcc
	s_movk_i32 s0, 0x3000
	s_mul_hi_u32 s1, s8, 0xfffffce8
	global_load_dwordx4 v[42:45], v[0:1], off
	global_load_dwordx4 v[46:49], v[4:5], off
	v_add_co_u32_e32 v0, vcc, s0, v186
	s_mul_i32 s0, s9, 0xfffffce8
	s_sub_i32 s1, s1, s8
	s_add_i32 s1, s1, s0
	s_mul_i32 s0, s8, 0xfffffce8
	v_addc_co_u32_e32 v1, vcc, 0, v187, vcc
	s_lshl_b64 s[18:19], s[0:1], 4
	v_mov_b32_e32 v27, s19
	v_add_co_u32_e32 v8, vcc, s18, v4
	v_addc_co_u32_e32 v9, vcc, v5, v27, vcc
	v_add_co_u32_e32 v12, vcc, s14, v8
	global_load_dwordx4 v[0:3], v[0:1], off offset:3200
	s_nop 0
	global_load_dwordx4 v[36:39], v185, s[16:17]
	global_load_dwordx4 v[4:7], v185, s[16:17] offset:2816
	v_addc_co_u32_e32 v13, vcc, v9, v41, vcc
	s_movk_i32 s0, 0x4000
	global_load_dwordx4 v[50:53], v[8:9], off
	global_load_dwordx4 v[54:57], v[12:13], off
	v_add_co_u32_e32 v8, vcc, s0, v186
	v_addc_co_u32_e32 v9, vcc, 0, v187, vcc
	v_add_co_u32_e32 v16, vcc, s18, v12
	v_addc_co_u32_e32 v17, vcc, v13, v27, vcc
	s_movk_i32 s0, 0x1000
	v_add_co_u32_e32 v12, vcc, s0, v186
	v_addc_co_u32_e32 v13, vcc, 0, v187, vcc
	global_load_dwordx4 v[58:61], v[16:17], off
	v_add_co_u32_e32 v16, vcc, s14, v16
	v_addc_co_u32_e32 v17, vcc, v17, v41, vcc
	s_movk_i32 s0, 0x5000
	v_add_co_u32_e32 v20, vcc, s0, v186
	v_addc_co_u32_e32 v21, vcc, 0, v187, vcc
	global_load_dwordx4 v[62:65], v[16:17], off
	v_add_co_u32_e32 v16, vcc, s18, v16
	v_addc_co_u32_e32 v17, vcc, v17, v27, vcc
	s_movk_i32 s0, 0x2000
	v_add_co_u32_e32 v24, vcc, s0, v186
	v_addc_co_u32_e32 v25, vcc, 0, v187, vcc
	global_load_dwordx4 v[8:11], v[8:9], off offset:1920
	v_add_co_u32_e32 v22, vcc, s14, v16
	global_load_dwordx4 v[12:15], v[12:13], off offset:1536
	v_addc_co_u32_e32 v23, vcc, v17, v41, vcc
	global_load_dwordx4 v[66:69], v[16:17], off
	global_load_dwordx4 v[70:73], v[22:23], off
	global_load_dwordx4 v[28:31], v[20:21], off offset:640
	s_nop 0
	global_load_dwordx4 v[16:19], v[20:21], off offset:3456
	v_add_co_u32_e32 v26, vcc, s18, v22
	v_addc_co_u32_e32 v27, vcc, v23, v27, vcc
	v_add_co_u32_e32 v40, vcc, s14, v26
	v_addc_co_u32_e32 v41, vcc, v27, v41, vcc
	s_movk_i32 s0, 0x6000
	global_load_dwordx4 v[74:77], v[26:27], off
	global_load_dwordx4 v[32:35], v[24:25], off offset:256
	global_load_dwordx4 v[20:23], v[24:25], off offset:3072
	v_add_co_u32_e32 v24, vcc, s0, v186
	v_addc_co_u32_e32 v25, vcc, 0, v187, vcc
	global_load_dwordx4 v[78:81], v[40:41], off
	s_movk_i32 s0, 0x58
	global_load_dwordx4 v[24:27], v[24:25], off offset:2176
	s_load_dwordx2 s[12:13], s[4:5], 0x38
	s_load_dwordx4 s[8:11], s[2:3], 0x0
	v_cmp_gt_u16_e64 s[0:1], s0, v188
	s_waitcnt vmcnt(16)
	v_mul_f64 v[82:83], v[44:45], v[38:39]
	v_mul_f64 v[84:85], v[42:43], v[38:39]
	;; [unrolled: 1-line block ×4, first 2 shown]
	v_fma_f64 v[42:43], v[42:43], v[36:37], v[82:83]
	v_fma_f64 v[44:45], v[44:45], v[36:37], -v[84:85]
	v_fma_f64 v[46:47], v[46:47], v[0:1], v[86:87]
	v_fma_f64 v[48:49], v[48:49], v[0:1], -v[88:89]
	ds_write_b128 v185, v[42:45]
	ds_write_b128 v185, v[46:49] offset:15488
	s_waitcnt vmcnt(14)
	v_mul_f64 v[42:43], v[52:53], v[6:7]
	v_mul_f64 v[44:45], v[50:51], v[6:7]
	v_fma_f64 v[42:43], v[50:51], v[4:5], v[42:43]
	v_fma_f64 v[44:45], v[52:53], v[4:5], -v[44:45]
	s_waitcnt vmcnt(10)
	v_mul_f64 v[46:47], v[56:57], v[10:11]
	v_mul_f64 v[48:49], v[54:55], v[10:11]
	s_waitcnt vmcnt(9)
	v_mul_f64 v[82:83], v[60:61], v[14:15]
	v_mul_f64 v[84:85], v[58:59], v[14:15]
	s_waitcnt vmcnt(6)
	v_mul_f64 v[86:87], v[64:65], v[30:31]
	v_mul_f64 v[88:89], v[62:63], v[30:31]
	v_fma_f64 v[46:47], v[54:55], v[8:9], v[46:47]
	v_fma_f64 v[48:49], v[56:57], v[8:9], -v[48:49]
	v_fma_f64 v[50:51], v[58:59], v[12:13], v[82:83]
	v_fma_f64 v[52:53], v[60:61], v[12:13], -v[84:85]
	;; [unrolled: 2-line block ×3, first 2 shown]
	s_waitcnt vmcnt(3)
	v_mul_f64 v[58:59], v[68:69], v[34:35]
	v_mul_f64 v[60:61], v[66:67], v[34:35]
	;; [unrolled: 1-line block ×4, first 2 shown]
	s_waitcnt vmcnt(2)
	v_mul_f64 v[82:83], v[76:77], v[22:23]
	v_mul_f64 v[84:85], v[74:75], v[22:23]
	s_waitcnt vmcnt(0)
	v_mul_f64 v[86:87], v[80:81], v[26:27]
	v_mul_f64 v[88:89], v[78:79], v[26:27]
	v_fma_f64 v[58:59], v[66:67], v[32:33], v[58:59]
	v_fma_f64 v[60:61], v[68:69], v[32:33], -v[60:61]
	v_fma_f64 v[62:63], v[70:71], v[16:17], v[62:63]
	v_fma_f64 v[64:65], v[72:73], v[16:17], -v[64:65]
	;; [unrolled: 2-line block ×4, first 2 shown]
	ds_write_b128 v185, v[42:45] offset:2816
	ds_write_b128 v185, v[46:49] offset:18304
	;; [unrolled: 1-line block ×8, first 2 shown]
	s_and_saveexec_b64 s[2:3], s[0:1]
	s_cbranch_execz .LBB0_3
; %bb.2:
	v_mov_b32_e32 v42, s19
	v_add_co_u32_e32 v48, vcc, s18, v40
	v_addc_co_u32_e32 v49, vcc, v41, v42, vcc
	v_add_co_u32_e32 v44, vcc, 0x3000, v186
	v_addc_co_u32_e32 v45, vcc, 0, v187, vcc
	v_mov_b32_e32 v50, s15
	v_add_co_u32_e32 v56, vcc, s14, v48
	v_addc_co_u32_e32 v57, vcc, v49, v50, vcc
	s_movk_i32 s14, 0x7000
	v_add_co_u32_e32 v58, vcc, s14, v186
	global_load_dwordx4 v[40:43], v[48:49], off
	v_addc_co_u32_e32 v59, vcc, 0, v187, vcc
	global_load_dwordx4 v[44:47], v[44:45], off offset:1792
	s_nop 0
	global_load_dwordx4 v[48:51], v[58:59], off offset:896
	global_load_dwordx4 v[52:55], v[56:57], off
	s_waitcnt vmcnt(2)
	v_mul_f64 v[56:57], v[42:43], v[46:47]
	v_mul_f64 v[46:47], v[40:41], v[46:47]
	s_waitcnt vmcnt(0)
	v_mul_f64 v[58:59], v[54:55], v[50:51]
	v_mul_f64 v[50:51], v[52:53], v[50:51]
	v_fma_f64 v[40:41], v[40:41], v[44:45], v[56:57]
	v_fma_f64 v[42:43], v[42:43], v[44:45], -v[46:47]
	v_fma_f64 v[44:45], v[52:53], v[48:49], v[58:59]
	v_fma_f64 v[46:47], v[54:55], v[48:49], -v[50:51]
	ds_write_b128 v185, v[40:43] offset:14080
	ds_write_b128 v185, v[44:47] offset:29568
.LBB0_3:
	s_or_b64 exec, exec, s[2:3]
	s_waitcnt lgkmcnt(0)
	s_barrier
	ds_read_b128 v[76:79], v185
	ds_read_b128 v[72:75], v185 offset:2816
	ds_read_b128 v[80:83], v185 offset:18304
	;; [unrolled: 1-line block ×9, first 2 shown]
                                        ; implicit-def: $vgpr60_vgpr61
                                        ; implicit-def: $vgpr56_vgpr57
	s_and_saveexec_b64 s[2:3], s[0:1]
	s_cbranch_execz .LBB0_5
; %bb.4:
	ds_read_b128 v[56:59], v185 offset:14080
	ds_read_b128 v[60:63], v185 offset:29568
.LBB0_5:
	s_or_b64 exec, exec, s[2:3]
	s_waitcnt lgkmcnt(3)
	v_add_f64 v[84:85], v[76:77], -v[84:85]
	v_add_f64 v[86:87], v[78:79], -v[86:87]
	;; [unrolled: 1-line block ×6, first 2 shown]
	s_waitcnt lgkmcnt(1)
	v_add_f64 v[64:65], v[40:41], -v[64:65]
	v_add_f64 v[66:67], v[42:43], -v[66:67]
	s_waitcnt lgkmcnt(0)
	v_add_f64 v[88:89], v[52:53], -v[48:49]
	v_add_f64 v[90:91], v[54:55], -v[50:51]
	;; [unrolled: 1-line block ×4, first 2 shown]
	v_fma_f64 v[76:77], v[76:77], 2.0, -v[84:85]
	v_fma_f64 v[78:79], v[78:79], 2.0, -v[86:87]
	;; [unrolled: 1-line block ×12, first 2 shown]
	s_load_dwordx2 s[4:5], s[4:5], 0x8
	s_movk_i32 s2, 0xb0
	v_add_co_u32_e32 v105, vcc, s2, v188
	s_movk_i32 s2, 0x160
	v_add_co_u32_e32 v104, vcc, s2, v188
	v_lshlrev_b32_e32 v93, 1, v188
	s_movk_i32 s2, 0x370
	v_add_co_u32_e32 v92, vcc, s2, v188
	v_add_u32_e32 v95, 0x420, v93
	v_add_u32_e32 v94, 0x580, v93
	v_lshlrev_b32_e32 v192, 5, v188
	v_lshlrev_b32_e32 v97, 1, v105
	;; [unrolled: 1-line block ×9, first 2 shown]
	s_waitcnt lgkmcnt(0)
	s_barrier
	ds_write_b128 v192, v[76:79]
	ds_write_b128 v192, v[84:87] offset:16
	ds_write_b128 v193, v[72:75]
	ds_write_b128 v193, v[80:83] offset:16
	;; [unrolled: 2-line block ×3, first 2 shown]
	ds_write_b128 v56, v[40:43] offset:16896
	ds_write_b128 v195, v[64:67] offset:16
	;; [unrolled: 1-line block ×4, first 2 shown]
	s_and_saveexec_b64 s[2:3], s[0:1]
	s_cbranch_execz .LBB0_7
; %bb.6:
	ds_write_b128 v191, v[44:47]
	ds_write_b128 v191, v[48:51] offset:16
.LBB0_7:
	s_or_b64 exec, exec, s[2:3]
	s_waitcnt lgkmcnt(0)
	s_barrier
	ds_read_b128 v[68:71], v185
	ds_read_b128 v[60:63], v185 offset:2816
	ds_read_b128 v[80:83], v185 offset:18304
	;; [unrolled: 1-line block ×9, first 2 shown]
	s_and_saveexec_b64 s[2:3], s[0:1]
	s_cbranch_execz .LBB0_9
; %bb.8:
	ds_read_b128 v[44:47], v185 offset:14080
	ds_read_b128 v[48:51], v185 offset:29568
.LBB0_9:
	s_or_b64 exec, exec, s[2:3]
	v_and_b32_e32 v189, 1, v188
	v_lshlrev_b32_e32 v40, 4, v189
	global_load_dwordx4 v[40:43], v40, s[4:5]
	s_movk_i32 s2, 0x1fc
	s_movk_i32 s14, 0x7fc
	v_lshlrev_b32_e32 v202, 1, v92
	s_waitcnt vmcnt(0) lgkmcnt(0)
	s_barrier
	v_mul_f64 v[98:99], v[90:91], v[42:43]
	v_fma_f64 v[98:99], v[88:89], v[40:41], -v[98:99]
	v_mul_f64 v[88:89], v[88:89], v[42:43]
	v_fma_f64 v[88:89], v[90:91], v[40:41], v[88:89]
	v_mul_f64 v[90:91], v[82:83], v[42:43]
	v_fma_f64 v[90:91], v[80:81], v[40:41], -v[90:91]
	v_mul_f64 v[80:81], v[80:81], v[42:43]
	v_fma_f64 v[80:81], v[82:83], v[40:41], v[80:81]
	;; [unrolled: 4-line block ×3, first 2 shown]
	v_mul_f64 v[76:77], v[86:87], v[42:43]
	v_add_f64 v[78:79], v[62:63], -v[80:81]
	v_fma_f64 v[106:107], v[84:85], v[40:41], -v[76:77]
	v_mul_f64 v[76:77], v[84:85], v[42:43]
	v_fma_f64 v[82:83], v[62:63], 2.0, -v[78:79]
	v_add_f64 v[84:85], v[64:65], -v[100:101]
	v_fma_f64 v[108:109], v[86:87], v[40:41], v[76:77]
	v_mul_f64 v[76:77], v[74:75], v[42:43]
	v_add_f64 v[86:87], v[66:67], -v[102:103]
	v_add_f64 v[100:101], v[58:59], -v[108:109]
	v_fma_f64 v[110:111], v[72:73], v[40:41], -v[76:77]
	v_mul_f64 v[72:73], v[72:73], v[42:43]
	v_add_f64 v[76:77], v[60:61], -v[90:91]
	v_fma_f64 v[90:91], v[66:67], 2.0, -v[86:87]
	v_fma_f64 v[108:109], v[58:59], 2.0, -v[100:101]
	v_fma_f64 v[112:113], v[74:75], v[40:41], v[72:73]
	v_mul_f64 v[72:73], v[50:51], v[42:43]
	v_fma_f64 v[80:81], v[60:61], 2.0, -v[76:77]
	v_add_f64 v[60:61], v[52:53], -v[110:111]
	v_add_f64 v[62:63], v[54:55], -v[112:113]
	v_fma_f64 v[114:115], v[48:49], v[40:41], -v[72:73]
	v_mul_f64 v[48:49], v[48:49], v[42:43]
	v_fma_f64 v[58:59], v[54:55], 2.0, -v[62:63]
	v_fma_f64 v[116:117], v[50:51], v[40:41], v[48:49]
	v_add_f64 v[48:49], v[68:69], -v[98:99]
	v_add_f64 v[50:51], v[70:71], -v[88:89]
	;; [unrolled: 1-line block ×3, first 2 shown]
	v_fma_f64 v[88:89], v[64:65], 2.0, -v[84:85]
	v_fma_f64 v[72:73], v[68:69], 2.0, -v[48:49]
	;; [unrolled: 1-line block ×3, first 2 shown]
	v_add_f64 v[68:69], v[44:45], -v[114:115]
	v_add_f64 v[70:71], v[46:47], -v[116:117]
	v_fma_f64 v[106:107], v[56:57], 2.0, -v[98:99]
	v_fma_f64 v[56:57], v[52:53], 2.0, -v[60:61]
	;; [unrolled: 1-line block ×4, first 2 shown]
	v_and_or_b32 v44, v93, s2, v189
	s_movk_i32 s2, 0x3fc
	v_lshlrev_b32_e32 v197, 4, v44
	v_and_or_b32 v44, v97, s2, v189
	v_lshlrev_b32_e32 v198, 4, v44
	v_and_or_b32 v44, v96, s14, v189
	;; [unrolled: 2-line block ×4, first 2 shown]
	v_lshlrev_b32_e32 v201, 4, v44
	ds_write_b128 v197, v[72:75]
	ds_write_b128 v197, v[48:51] offset:32
	ds_write_b128 v198, v[80:83]
	ds_write_b128 v198, v[76:79] offset:32
	;; [unrolled: 2-line block ×5, first 2 shown]
	s_and_saveexec_b64 s[2:3], s[0:1]
	s_cbranch_execz .LBB0_11
; %bb.10:
	v_and_or_b32 v44, v202, s14, v189
	v_lshlrev_b32_e32 v44, 4, v44
	ds_write_b128 v44, v[64:67]
	ds_write_b128 v44, v[68:71] offset:32
.LBB0_11:
	s_or_b64 exec, exec, s[2:3]
	s_waitcnt lgkmcnt(0)
	s_barrier
	ds_read_b128 v[72:75], v185
	ds_read_b128 v[76:79], v185 offset:2816
	ds_read_b128 v[92:95], v185 offset:7744
	;; [unrolled: 1-line block ×7, first 2 shown]
	s_movk_i32 s2, 0x84
	v_cmp_gt_u16_e64 s[2:3], s2, v188
	s_and_saveexec_b64 s[14:15], s[2:3]
	s_cbranch_execz .LBB0_13
; %bb.12:
	ds_read_b128 v[56:59], v185 offset:5632
	ds_read_b128 v[60:63], v185 offset:13376
	;; [unrolled: 1-line block ×4, first 2 shown]
.LBB0_13:
	s_or_b64 exec, exec, s[14:15]
	v_and_b32_e32 v190, 3, v188
	v_mad_u64_u32 v[106:107], s[14:15], v190, 48, s[4:5]
	s_movk_i32 s14, 0x3f0
	v_lshlrev_b32_e32 v105, 2, v105
	global_load_dwordx4 v[52:55], v[106:107], off offset:32
	global_load_dwordx4 v[48:51], v[106:107], off offset:48
	;; [unrolled: 1-line block ×3, first 2 shown]
	v_lshlrev_b32_e32 v106, 2, v188
	s_movk_i32 s15, 0x7f0
	v_and_or_b32 v106, v106, s14, v190
	v_and_or_b32 v105, v105, s15, v190
	v_lshlrev_b32_e32 v204, 4, v106
	v_lshlrev_b32_e32 v203, 4, v105
	;; [unrolled: 1-line block ×3, first 2 shown]
	s_waitcnt vmcnt(0) lgkmcnt(0)
	s_barrier
	v_mul_f64 v[105:106], v[94:95], v[54:55]
	v_mul_f64 v[107:108], v[92:93], v[54:55]
	;; [unrolled: 1-line block ×12, first 2 shown]
	v_fma_f64 v[92:93], v[92:93], v[52:53], -v[105:106]
	v_fma_f64 v[94:95], v[94:95], v[52:53], v[107:108]
	v_fma_f64 v[96:97], v[96:97], v[48:49], -v[109:110]
	v_fma_f64 v[98:99], v[98:99], v[48:49], v[111:112]
	;; [unrolled: 2-line block ×6, first 2 shown]
	v_mul_f64 v[129:130], v[62:63], v[54:55]
	v_mul_f64 v[131:132], v[60:61], v[54:55]
	;; [unrolled: 1-line block ×6, first 2 shown]
	v_add_f64 v[96:97], v[72:73], -v[96:97]
	v_add_f64 v[98:99], v[74:75], -v[98:99]
	;; [unrolled: 1-line block ×8, first 2 shown]
	v_fma_f64 v[60:61], v[60:61], v[52:53], -v[129:130]
	v_fma_f64 v[62:63], v[62:63], v[52:53], v[131:132]
	v_fma_f64 v[64:65], v[64:65], v[48:49], -v[133:134]
	v_fma_f64 v[66:67], v[66:67], v[48:49], v[135:136]
	v_fma_f64 v[68:69], v[68:69], v[44:45], -v[137:138]
	v_fma_f64 v[70:71], v[70:71], v[44:45], v[139:140]
	v_fma_f64 v[107:108], v[72:73], 2.0, -v[96:97]
	v_fma_f64 v[111:112], v[74:75], 2.0, -v[98:99]
	;; [unrolled: 1-line block ×8, first 2 shown]
	v_add_f64 v[64:65], v[56:57], -v[64:65]
	v_add_f64 v[66:67], v[58:59], -v[66:67]
	;; [unrolled: 1-line block ×5, first 2 shown]
	v_add_f64 v[74:75], v[98:99], v[100:101]
	v_add_f64 v[80:81], v[107:108], -v[86:87]
	v_add_f64 v[82:83], v[111:112], -v[90:91]
	;; [unrolled: 1-line block ×5, first 2 shown]
	v_add_f64 v[78:79], v[109:110], v[88:89]
	v_fma_f64 v[88:89], v[96:97], 2.0, -v[72:73]
	v_fma_f64 v[90:91], v[98:99], 2.0, -v[74:75]
	v_add_f64 v[96:97], v[64:65], -v[70:71]
	v_add_f64 v[98:99], v[66:67], v[68:69]
	v_fma_f64 v[100:101], v[107:108], 2.0, -v[80:81]
	v_fma_f64 v[102:103], v[111:112], 2.0, -v[82:83]
	v_fma_f64 v[92:93], v[105:106], 2.0, -v[76:77]
	v_fma_f64 v[105:106], v[94:95], 2.0, -v[84:85]
	v_fma_f64 v[107:108], v[113:114], 2.0, -v[86:87]
	v_fma_f64 v[94:95], v[109:110], 2.0, -v[78:79]
	ds_write_b128 v204, v[72:75] offset:192
	ds_write_b128 v204, v[88:91] offset:64
	;; [unrolled: 1-line block ×3, first 2 shown]
	ds_write_b128 v204, v[100:103]
	ds_write_b128 v203, v[105:108]
	ds_write_b128 v203, v[92:95] offset:64
	ds_write_b128 v203, v[84:87] offset:128
	;; [unrolled: 1-line block ×3, first 2 shown]
	s_and_saveexec_b64 s[14:15], s[2:3]
	s_cbranch_execz .LBB0_15
; %bb.14:
	v_fma_f64 v[72:73], v[58:59], 2.0, -v[66:67]
	v_fma_f64 v[58:59], v[62:63], 2.0, -v[70:71]
	;; [unrolled: 1-line block ×6, first 2 shown]
	s_movk_i32 s16, 0xff0
	v_and_or_b32 v68, v205, s16, v190
	v_lshlrev_b32_e32 v68, 4, v68
	v_add_f64 v[58:59], v[72:73], -v[58:59]
	v_add_f64 v[56:57], v[70:71], -v[56:57]
	v_fma_f64 v[66:67], v[72:73], 2.0, -v[58:59]
	v_fma_f64 v[64:65], v[70:71], 2.0, -v[56:57]
	ds_write_b128 v68, v[60:63] offset:64
	ds_write_b128 v68, v[56:59] offset:128
	ds_write_b128 v68, v[64:67]
	ds_write_b128 v68, v[96:99] offset:192
.LBB0_15:
	s_or_b64 exec, exec, s[14:15]
	v_mov_b32_e32 v109, s5
	v_and_b32_e32 v168, 15, v188
	s_movk_i32 s33, 0xa0
	v_mov_b32_e32 v108, s4
	v_mad_u64_u32 v[150:151], s[4:5], v168, s33, v[108:109]
	v_mov_b32_e32 v56, s17
	v_addc_co_u32_e64 v178, vcc, 0, v56, s[6:7]
	s_waitcnt lgkmcnt(0)
	s_barrier
	ds_read_b128 v[104:107], v185
	ds_read_b128 v[56:59], v185 offset:2816
	ds_read_b128 v[64:67], v185 offset:5632
	;; [unrolled: 1-line block ×10, first 2 shown]
	global_load_dwordx4 v[60:63], v[150:151], off offset:272
	global_load_dwordx4 v[68:71], v[150:151], off offset:256
	;; [unrolled: 1-line block ×4, first 2 shown]
	s_mov_b32 s24, 0xf8bb580b
	s_mov_b32 s25, 0xbfe14ced
	;; [unrolled: 1-line block ×28, first 2 shown]
	s_waitcnt vmcnt(0) lgkmcnt(9)
	v_mul_f64 v[88:89], v[58:59], v[82:83]
	v_fma_f64 v[152:153], v[56:57], v[80:81], -v[88:89]
	v_mul_f64 v[56:57], v[56:57], v[82:83]
	v_fma_f64 v[154:155], v[58:59], v[80:81], v[56:57]
	s_waitcnt lgkmcnt(8)
	v_mul_f64 v[56:57], v[66:67], v[78:79]
	v_fma_f64 v[134:135], v[64:65], v[76:77], -v[56:57]
	v_mul_f64 v[56:57], v[64:65], v[78:79]
	v_fma_f64 v[136:137], v[66:67], v[76:77], v[56:57]
	s_waitcnt lgkmcnt(7)
	;; [unrolled: 5-line block ×3, first 2 shown]
	v_mul_f64 v[56:57], v[86:87], v[62:63]
	v_fma_f64 v[120:121], v[84:85], v[60:61], -v[56:57]
	v_mul_f64 v[56:57], v[84:85], v[62:63]
	v_fma_f64 v[118:119], v[86:87], v[60:61], v[56:57]
	global_load_dwordx4 v[56:59], v[150:151], off offset:336
	global_load_dwordx4 v[64:67], v[150:151], off offset:320
	;; [unrolled: 1-line block ×4, first 2 shown]
	s_waitcnt vmcnt(0) lgkmcnt(5)
	v_mul_f64 v[84:85], v[94:95], v[90:91]
	v_fma_f64 v[114:115], v[92:93], v[88:89], -v[84:85]
	v_mul_f64 v[84:85], v[92:93], v[90:91]
	v_fma_f64 v[110:111], v[94:95], v[88:89], v[84:85]
	s_waitcnt lgkmcnt(4)
	v_mul_f64 v[84:85], v[102:103], v[74:75]
	v_fma_f64 v[116:117], v[100:101], v[72:73], -v[84:85]
	v_mul_f64 v[84:85], v[100:101], v[74:75]
	v_fma_f64 v[112:113], v[102:103], v[72:73], v[84:85]
	s_waitcnt lgkmcnt(3)
	v_mul_f64 v[84:85], v[132:133], v[66:67]
	v_add_f64 v[102:103], v[106:107], v[154:155]
	v_fma_f64 v[124:125], v[130:131], v[64:65], -v[84:85]
	v_mul_f64 v[84:85], v[130:131], v[66:67]
	v_add_f64 v[102:103], v[102:103], v[136:137]
	v_fma_f64 v[122:123], v[132:133], v[64:65], v[84:85]
	s_waitcnt lgkmcnt(2)
	v_mul_f64 v[84:85], v[140:141], v[58:59]
	v_add_f64 v[102:103], v[102:103], v[126:127]
	v_fma_f64 v[132:133], v[138:139], v[56:57], -v[84:85]
	v_mul_f64 v[84:85], v[138:139], v[58:59]
	v_add_f64 v[102:103], v[102:103], v[118:119]
	v_fma_f64 v[130:131], v[140:141], v[56:57], v[84:85]
	global_load_dwordx4 v[84:87], v[150:151], off offset:368
	global_load_dwordx4 v[92:95], v[150:151], off offset:352
	v_add_f64 v[102:103], v[102:103], v[110:111]
	s_waitcnt vmcnt(0) lgkmcnt(0)
	s_barrier
	v_add_f64 v[102:103], v[102:103], v[112:113]
	v_add_f64 v[102:103], v[102:103], v[122:123]
	;; [unrolled: 1-line block ×3, first 2 shown]
	v_mul_f64 v[100:101], v[144:145], v[94:95]
	v_fma_f64 v[162:163], v[142:143], v[92:93], -v[100:101]
	v_mul_f64 v[100:101], v[142:143], v[94:95]
	v_fma_f64 v[166:167], v[144:145], v[92:93], v[100:101]
	v_mul_f64 v[100:101], v[148:149], v[86:87]
	v_add_f64 v[102:103], v[102:103], v[166:167]
	v_fma_f64 v[138:139], v[146:147], v[84:85], -v[100:101]
	v_mul_f64 v[100:101], v[146:147], v[86:87]
	v_add_f64 v[169:170], v[152:153], v[138:139]
	v_fma_f64 v[140:141], v[148:149], v[84:85], v[100:101]
	v_add_f64 v[100:101], v[104:105], v[152:153]
	v_add_f64 v[152:153], v[152:153], -v[138:139]
	v_add_f64 v[150:151], v[154:155], -v[140:141]
	v_add_f64 v[100:101], v[100:101], v[134:135]
	v_add_f64 v[102:103], v[102:103], v[140:141]
	;; [unrolled: 1-line block ×3, first 2 shown]
	v_mul_f64 v[210:211], v[152:153], s[26:27]
	v_mul_f64 v[208:209], v[150:151], s[26:27]
	v_add_f64 v[100:101], v[100:101], v[128:129]
	v_add_f64 v[100:101], v[100:101], v[120:121]
	;; [unrolled: 1-line block ×8, first 2 shown]
	v_mul_f64 v[138:139], v[150:151], s[24:25]
	v_fma_f64 v[140:141], v[169:170], s[16:17], -v[138:139]
	v_fma_f64 v[138:139], v[169:170], s[16:17], v[138:139]
	v_add_f64 v[173:174], v[104:105], v[140:141]
	v_mul_f64 v[140:141], v[152:153], s[24:25]
	v_add_f64 v[179:180], v[104:105], v[138:139]
	v_fma_f64 v[138:139], v[171:172], s[16:17], -v[140:141]
	v_fma_f64 v[142:143], v[171:172], s[16:17], v[140:141]
	v_add_f64 v[181:182], v[106:107], v[138:139]
	v_mul_f64 v[138:139], v[150:151], s[34:35]
	v_add_f64 v[175:176], v[106:107], v[142:143]
	;; [unrolled: 5-line block ×5, first 2 shown]
	v_fma_f64 v[142:143], v[171:172], s[4:5], v[140:141]
	v_fma_f64 v[138:139], v[171:172], s[4:5], -v[140:141]
	v_mul_f64 v[140:141], v[150:151], s[20:21]
	v_fma_f64 v[150:151], v[169:170], s[22:23], -v[208:209]
	v_add_f64 v[154:155], v[106:107], v[142:143]
	v_add_f64 v[158:159], v[106:107], v[138:139]
	v_fma_f64 v[138:139], v[169:170], s[18:19], -v[140:141]
	v_mul_f64 v[142:143], v[152:153], s[20:21]
	v_fma_f64 v[140:141], v[169:170], s[18:19], v[140:141]
	v_fma_f64 v[169:170], v[169:170], s[22:23], v[208:209]
	v_add_f64 v[150:151], v[104:105], v[150:151]
	v_fma_f64 v[152:153], v[171:172], s[22:23], v[210:211]
	v_add_f64 v[164:165], v[104:105], v[138:139]
	;; [unrolled: 2-line block ×3, first 2 shown]
	v_fma_f64 v[142:143], v[171:172], s[18:19], -v[142:143]
	v_add_f64 v[104:105], v[104:105], v[169:170]
	v_fma_f64 v[169:170], v[171:172], s[22:23], -v[210:211]
	v_add_f64 v[171:172], v[136:137], v[166:167]
	v_add_f64 v[136:137], v[136:137], -v[166:167]
	v_add_f64 v[152:153], v[106:107], v[152:153]
	v_add_f64 v[138:139], v[106:107], v[138:139]
	;; [unrolled: 1-line block ×5, first 2 shown]
	v_add_f64 v[134:135], v[134:135], -v[162:163]
	v_mul_f64 v[162:163], v[136:137], s[34:35]
	v_fma_f64 v[166:167], v[169:170], s[6:7], -v[162:163]
	v_fma_f64 v[162:163], v[169:170], s[6:7], v[162:163]
	v_add_f64 v[166:167], v[166:167], v[173:174]
	v_mul_f64 v[173:174], v[134:135], s[34:35]
	v_add_f64 v[162:163], v[162:163], v[179:180]
	v_mul_f64 v[179:180], v[136:137], s[20:21]
	v_fma_f64 v[208:209], v[171:172], s[6:7], v[173:174]
	v_fma_f64 v[173:174], v[171:172], s[6:7], -v[173:174]
	v_add_f64 v[175:176], v[208:209], v[175:176]
	v_add_f64 v[173:174], v[173:174], v[181:182]
	v_fma_f64 v[181:182], v[169:170], s[18:19], -v[179:180]
	v_fma_f64 v[179:180], v[169:170], s[18:19], v[179:180]
	v_add_f64 v[181:182], v[181:182], v[206:207]
	v_mul_f64 v[206:207], v[134:135], s[20:21]
	v_add_f64 v[146:147], v[179:180], v[146:147]
	v_fma_f64 v[179:180], v[171:172], s[18:19], -v[206:207]
	v_fma_f64 v[208:209], v[171:172], s[18:19], v[206:207]
	v_add_f64 v[148:149], v[179:180], v[148:149]
	v_mul_f64 v[179:180], v[136:137], s[38:39]
	;; [unrolled: 5-line block ×4, first 2 shown]
	v_mul_f64 v[136:137], v[136:137], s[28:29]
	v_add_f64 v[154:155], v[208:209], v[154:155]
	v_fma_f64 v[206:207], v[169:170], s[4:5], -v[179:180]
	v_fma_f64 v[179:180], v[169:170], s[4:5], v[179:180]
	v_add_f64 v[164:165], v[206:207], v[164:165]
	v_mul_f64 v[206:207], v[134:135], s[36:37]
	v_add_f64 v[140:141], v[179:180], v[140:141]
	v_mul_f64 v[134:135], v[134:135], s[28:29]
	v_fma_f64 v[179:180], v[171:172], s[4:5], -v[206:207]
	v_fma_f64 v[208:209], v[171:172], s[4:5], v[206:207]
	v_add_f64 v[142:143], v[179:180], v[142:143]
	v_fma_f64 v[179:180], v[169:170], s[16:17], -v[136:137]
	v_fma_f64 v[136:137], v[169:170], s[16:17], v[136:137]
	v_add_f64 v[138:139], v[208:209], v[138:139]
	v_add_f64 v[150:151], v[179:180], v[150:151]
	v_fma_f64 v[179:180], v[171:172], s[16:17], v[134:135]
	v_add_f64 v[104:105], v[136:137], v[104:105]
	v_fma_f64 v[134:135], v[171:172], s[16:17], -v[134:135]
	v_add_f64 v[136:137], v[126:127], v[130:131]
	v_add_f64 v[126:127], v[126:127], -v[130:131]
	v_add_f64 v[152:153], v[179:180], v[152:153]
	v_add_f64 v[106:107], v[134:135], v[106:107]
	;; [unrolled: 1-line block ×3, first 2 shown]
	v_mul_f64 v[130:131], v[126:127], s[14:15]
	v_add_f64 v[128:129], v[128:129], -v[132:133]
	v_fma_f64 v[132:133], v[134:135], s[4:5], -v[130:131]
	v_fma_f64 v[130:131], v[134:135], s[4:5], v[130:131]
	v_add_f64 v[132:133], v[132:133], v[166:167]
	v_mul_f64 v[166:167], v[128:129], s[14:15]
	v_add_f64 v[130:131], v[130:131], v[162:163]
	v_fma_f64 v[169:170], v[136:137], s[4:5], v[166:167]
	v_fma_f64 v[162:163], v[136:137], s[4:5], -v[166:167]
	v_mul_f64 v[166:167], v[126:127], s[38:39]
	v_add_f64 v[169:170], v[169:170], v[175:176]
	v_add_f64 v[162:163], v[162:163], v[173:174]
	v_fma_f64 v[171:172], v[134:135], s[22:23], -v[166:167]
	v_mul_f64 v[173:174], v[128:129], s[38:39]
	v_fma_f64 v[166:167], v[134:135], s[22:23], v[166:167]
	v_add_f64 v[171:172], v[171:172], v[181:182]
	v_fma_f64 v[175:176], v[136:137], s[22:23], v[173:174]
	v_add_f64 v[146:147], v[166:167], v[146:147]
	v_fma_f64 v[166:167], v[136:137], s[22:23], -v[173:174]
	v_add_f64 v[144:145], v[175:176], v[144:145]
	v_add_f64 v[148:149], v[166:167], v[148:149]
	v_mul_f64 v[166:167], v[126:127], s[30:31]
	v_fma_f64 v[173:174], v[134:135], s[6:7], -v[166:167]
	v_fma_f64 v[166:167], v[134:135], s[6:7], v[166:167]
	v_add_f64 v[160:161], v[173:174], v[160:161]
	v_mul_f64 v[173:174], v[128:129], s[30:31]
	v_add_f64 v[156:157], v[166:167], v[156:157]
	v_fma_f64 v[166:167], v[136:137], s[6:7], -v[173:174]
	v_fma_f64 v[175:176], v[136:137], s[6:7], v[173:174]
	v_add_f64 v[158:159], v[166:167], v[158:159]
	v_mul_f64 v[166:167], v[126:127], s[24:25]
	v_mul_f64 v[126:127], v[126:127], s[20:21]
	v_add_f64 v[154:155], v[175:176], v[154:155]
	v_fma_f64 v[173:174], v[134:135], s[16:17], -v[166:167]
	v_fma_f64 v[166:167], v[134:135], s[16:17], v[166:167]
	v_add_f64 v[164:165], v[173:174], v[164:165]
	v_mul_f64 v[173:174], v[128:129], s[24:25]
	v_add_f64 v[140:141], v[166:167], v[140:141]
	v_mul_f64 v[128:129], v[128:129], s[20:21]
	v_fma_f64 v[166:167], v[136:137], s[16:17], -v[173:174]
	v_fma_f64 v[175:176], v[136:137], s[16:17], v[173:174]
	v_add_f64 v[173:174], v[110:111], -v[112:113]
	v_add_f64 v[142:143], v[166:167], v[142:143]
	v_fma_f64 v[166:167], v[134:135], s[18:19], -v[126:127]
	v_fma_f64 v[126:127], v[134:135], s[18:19], v[126:127]
	v_add_f64 v[138:139], v[175:176], v[138:139]
	v_mad_u64_u32 v[176:177], s[40:41], v188, s33, v[108:109]
	v_add_f64 v[150:151], v[166:167], v[150:151]
	v_fma_f64 v[166:167], v[136:137], s[18:19], v[128:129]
	v_add_f64 v[104:105], v[126:127], v[104:105]
	v_fma_f64 v[126:127], v[136:137], s[18:19], -v[128:129]
	v_add_f64 v[128:129], v[118:119], v[122:123]
	v_add_f64 v[118:119], v[118:119], -v[122:123]
	v_add_f64 v[152:153], v[166:167], v[152:153]
	v_add_f64 v[106:107], v[126:127], v[106:107]
	;; [unrolled: 1-line block ×3, first 2 shown]
	v_mul_f64 v[122:123], v[118:119], s[20:21]
	v_add_f64 v[120:121], v[120:121], -v[124:125]
	v_fma_f64 v[124:125], v[126:127], s[18:19], -v[122:123]
	v_fma_f64 v[122:123], v[126:127], s[18:19], v[122:123]
	v_add_f64 v[124:125], v[124:125], v[132:133]
	v_mul_f64 v[132:133], v[120:121], s[20:21]
	v_add_f64 v[122:123], v[122:123], v[130:131]
	v_fma_f64 v[134:135], v[128:129], s[18:19], v[132:133]
	v_fma_f64 v[130:131], v[128:129], s[18:19], -v[132:133]
	v_mul_f64 v[132:133], v[118:119], s[36:37]
	v_add_f64 v[134:135], v[134:135], v[169:170]
	v_add_f64 v[130:131], v[130:131], v[162:163]
	v_fma_f64 v[136:137], v[126:127], s[4:5], -v[132:133]
	v_mul_f64 v[162:163], v[120:121], s[36:37]
	v_fma_f64 v[132:133], v[126:127], s[4:5], v[132:133]
	v_add_f64 v[169:170], v[110:111], v[112:113]
	v_mul_f64 v[110:111], v[173:174], s[26:27]
	v_add_f64 v[136:137], v[136:137], v[171:172]
	v_fma_f64 v[166:167], v[128:129], s[4:5], v[162:163]
	v_add_f64 v[132:133], v[132:133], v[146:147]
	v_fma_f64 v[146:147], v[128:129], s[4:5], -v[162:163]
	v_add_f64 v[171:172], v[114:115], -v[116:117]
	v_add_f64 v[144:145], v[166:167], v[144:145]
	v_add_f64 v[146:147], v[146:147], v[148:149]
	v_mul_f64 v[148:149], v[118:119], s[24:25]
	v_mul_f64 v[112:113], v[171:172], s[26:27]
	v_fma_f64 v[162:163], v[126:127], s[16:17], -v[148:149]
	v_fma_f64 v[148:149], v[126:127], s[16:17], v[148:149]
	v_add_f64 v[160:161], v[162:163], v[160:161]
	v_mul_f64 v[162:163], v[120:121], s[24:25]
	v_add_f64 v[148:149], v[148:149], v[156:157]
	v_fma_f64 v[156:157], v[128:129], s[16:17], -v[162:163]
	v_fma_f64 v[166:167], v[128:129], s[16:17], v[162:163]
	v_add_f64 v[156:157], v[156:157], v[158:159]
	v_mul_f64 v[158:159], v[118:119], s[26:27]
	v_mul_f64 v[118:119], v[118:119], s[30:31]
	v_add_f64 v[154:155], v[166:167], v[154:155]
	v_fma_f64 v[162:163], v[126:127], s[22:23], -v[158:159]
	v_fma_f64 v[158:159], v[126:127], s[22:23], v[158:159]
	v_add_f64 v[162:163], v[162:163], v[164:165]
	v_mul_f64 v[164:165], v[120:121], s[26:27]
	v_add_f64 v[140:141], v[158:159], v[140:141]
	v_mul_f64 v[120:121], v[120:121], s[30:31]
	v_fma_f64 v[158:159], v[128:129], s[22:23], -v[164:165]
	v_fma_f64 v[166:167], v[128:129], s[22:23], v[164:165]
	v_add_f64 v[142:143], v[158:159], v[142:143]
	v_fma_f64 v[158:159], v[126:127], s[6:7], -v[118:119]
	v_fma_f64 v[118:119], v[126:127], s[6:7], v[118:119]
	v_add_f64 v[138:139], v[166:167], v[138:139]
	v_add_f64 v[166:167], v[114:115], v[116:117]
	v_mul_f64 v[126:127], v[173:174], s[20:21]
	v_add_f64 v[150:151], v[158:159], v[150:151]
	v_fma_f64 v[158:159], v[128:129], s[6:7], v[120:121]
	v_add_f64 v[152:153], v[158:159], v[152:153]
	v_add_f64 v[158:159], v[118:119], v[104:105]
	v_mul_f64 v[118:119], v[173:174], s[28:29]
	v_fma_f64 v[104:105], v[128:129], s[6:7], -v[120:121]
	v_mul_f64 v[120:121], v[171:172], s[28:29]
	v_mul_f64 v[128:129], v[171:172], s[20:21]
	v_fma_f64 v[114:115], v[166:167], s[16:17], -v[118:119]
	v_add_f64 v[164:165], v[104:105], v[106:107]
	v_fma_f64 v[106:107], v[169:170], s[22:23], v[112:113]
	v_fma_f64 v[118:119], v[166:167], s[16:17], v[118:119]
	v_fma_f64 v[112:113], v[169:170], s[22:23], -v[112:113]
	v_fma_f64 v[116:117], v[169:170], s[16:17], v[120:121]
	v_fma_f64 v[104:105], v[166:167], s[22:23], -v[110:111]
	v_fma_f64 v[110:111], v[166:167], s[22:23], v[110:111]
	v_add_f64 v[114:115], v[114:115], v[136:137]
	v_mul_f64 v[136:137], v[171:172], s[30:31]
	v_add_f64 v[106:107], v[106:107], v[134:135]
	v_add_f64 v[118:119], v[118:119], v[132:133]
	v_mul_f64 v[134:135], v[173:174], s[30:31]
	v_add_f64 v[112:113], v[112:113], v[130:131]
	;; [unrolled: 3-line block ×3, first 2 shown]
	v_fma_f64 v[132:133], v[169:170], s[6:7], v[136:137]
	v_fma_f64 v[136:137], v[169:170], s[6:7], -v[136:137]
	v_add_f64 v[110:111], v[110:111], v[122:123]
	v_fma_f64 v[130:131], v[166:167], s[6:7], -v[134:135]
	v_fma_f64 v[134:135], v[166:167], s[6:7], v[134:135]
	v_fma_f64 v[122:123], v[166:167], s[18:19], -v[126:127]
	v_fma_f64 v[124:125], v[169:170], s[18:19], v[128:129]
	v_fma_f64 v[120:121], v[169:170], s[16:17], -v[120:121]
	v_add_f64 v[132:133], v[132:133], v[138:139]
	v_add_f64 v[136:137], v[136:137], v[142:143]
	v_mul_f64 v[142:143], v[173:174], s[14:15]
	v_fma_f64 v[126:127], v[166:167], s[18:19], v[126:127]
	v_add_f64 v[134:135], v[134:135], v[140:141]
	v_fma_f64 v[140:141], v[169:170], s[4:5], v[144:145]
	v_fma_f64 v[144:145], v[169:170], s[4:5], -v[144:145]
	v_fma_f64 v[128:129], v[169:170], s[18:19], -v[128:129]
	v_add_f64 v[122:123], v[122:123], v[160:161]
	v_add_f64 v[124:125], v[124:125], v[154:155]
	v_fma_f64 v[138:139], v[166:167], s[4:5], -v[142:143]
	v_fma_f64 v[142:143], v[166:167], s[4:5], v[142:143]
	v_add_f64 v[120:121], v[120:121], v[146:147]
	v_add_f64 v[130:131], v[130:131], v[162:163]
	v_lshrrev_b32_e32 v146, 4, v188
	v_add_f64 v[140:141], v[140:141], v[152:153]
	v_mul_u32_u24_e32 v146, 0xb0, v146
	v_add_f64 v[144:145], v[144:145], v[164:165]
	v_add_f64 v[138:139], v[138:139], v[150:151]
	;; [unrolled: 1-line block ×3, first 2 shown]
	v_or_b32_e32 v146, v146, v168
	v_add_f64 v[126:127], v[126:127], v[148:149]
	v_add_f64 v[128:129], v[128:129], v[156:157]
	v_lshlrev_b32_e32 v206, 4, v146
	ds_write_b128 v206, v[100:103]
	ds_write_b128 v206, v[104:107] offset:256
	ds_write_b128 v206, v[114:117] offset:512
	;; [unrolled: 1-line block ×10, first 2 shown]
	s_waitcnt lgkmcnt(0)
	s_barrier
	ds_read_b128 v[144:147], v185
	ds_read_b128 v[110:113], v185 offset:2816
	ds_read_b128 v[114:117], v185 offset:5632
	;; [unrolled: 1-line block ×10, first 2 shown]
	global_load_dwordx4 v[100:103], v[176:177], off offset:2832
	global_load_dwordx4 v[104:107], v[176:177], off offset:2816
	;; [unrolled: 1-line block ×4, first 2 shown]
	s_waitcnt vmcnt(0) lgkmcnt(9)
	v_mul_f64 v[108:109], v[112:113], v[126:127]
	v_fma_f64 v[215:216], v[110:111], v[124:125], -v[108:109]
	v_mul_f64 v[108:109], v[110:111], v[126:127]
	v_fma_f64 v[217:218], v[112:113], v[124:125], v[108:109]
	s_waitcnt lgkmcnt(8)
	v_mul_f64 v[108:109], v[116:117], v[122:123]
	v_fma_f64 v[174:175], v[114:115], v[120:121], -v[108:109]
	v_mul_f64 v[108:109], v[114:115], v[122:123]
	v_fma_f64 v[172:173], v[116:117], v[120:121], v[108:109]
	s_waitcnt lgkmcnt(7)
	;; [unrolled: 5-line block ×3, first 2 shown]
	v_mul_f64 v[108:109], v[134:135], v[102:103]
	v_fma_f64 v[158:159], v[132:133], v[100:101], -v[108:109]
	v_mul_f64 v[108:109], v[132:133], v[102:103]
	v_fma_f64 v[156:157], v[134:135], v[100:101], v[108:109]
	global_load_dwordx4 v[108:111], v[176:177], off offset:2896
	global_load_dwordx4 v[112:115], v[176:177], off offset:2880
	global_load_dwordx4 v[116:119], v[176:177], off offset:2864
	global_load_dwordx4 v[128:131], v[176:177], off offset:2848
	s_waitcnt vmcnt(0) lgkmcnt(5)
	v_mul_f64 v[132:133], v[138:139], v[130:131]
	v_fma_f64 v[152:153], v[136:137], v[128:129], -v[132:133]
	v_mul_f64 v[132:133], v[136:137], v[130:131]
	v_fma_f64 v[148:149], v[138:139], v[128:129], v[132:133]
	s_waitcnt lgkmcnt(4)
	v_mul_f64 v[132:133], v[142:143], v[118:119]
	v_fma_f64 v[154:155], v[140:141], v[116:117], -v[132:133]
	v_mul_f64 v[132:133], v[140:141], v[118:119]
	v_fma_f64 v[150:151], v[142:143], v[116:117], v[132:133]
	s_waitcnt lgkmcnt(3)
	v_mul_f64 v[132:133], v[170:171], v[114:115]
	v_add_f64 v[142:143], v[146:147], v[217:218]
	v_fma_f64 v[162:163], v[168:169], v[112:113], -v[132:133]
	v_mul_f64 v[132:133], v[168:169], v[114:115]
	v_add_f64 v[142:143], v[142:143], v[172:173]
	v_fma_f64 v[160:161], v[170:171], v[112:113], v[132:133]
	s_waitcnt lgkmcnt(2)
	v_mul_f64 v[132:133], v[181:182], v[110:111]
	v_add_f64 v[142:143], v[142:143], v[164:165]
	v_fma_f64 v[170:171], v[179:180], v[108:109], -v[132:133]
	v_mul_f64 v[132:133], v[179:180], v[110:111]
	v_add_f64 v[142:143], v[142:143], v[156:157]
	v_fma_f64 v[168:169], v[181:182], v[108:109], v[132:133]
	global_load_dwordx4 v[132:135], v[176:177], off offset:2928
	global_load_dwordx4 v[136:139], v[176:177], off offset:2912
	v_add_f64 v[142:143], v[142:143], v[148:149]
	v_add_f64 v[142:143], v[142:143], v[150:151]
	;; [unrolled: 1-line block ×4, first 2 shown]
	s_waitcnt vmcnt(0) lgkmcnt(1)
	v_mul_f64 v[140:141], v[209:210], v[138:139]
	v_fma_f64 v[179:180], v[207:208], v[136:137], -v[140:141]
	v_mul_f64 v[140:141], v[207:208], v[138:139]
	v_fma_f64 v[176:177], v[209:210], v[136:137], v[140:141]
	s_waitcnt lgkmcnt(0)
	v_mul_f64 v[140:141], v[213:214], v[134:135]
	v_add_f64 v[142:143], v[142:143], v[176:177]
	v_fma_f64 v[181:182], v[211:212], v[132:133], -v[140:141]
	v_mul_f64 v[140:141], v[211:212], v[134:135]
	v_add_f64 v[209:210], v[215:216], v[181:182]
	v_fma_f64 v[207:208], v[213:214], v[132:133], v[140:141]
	v_add_f64 v[140:141], v[144:145], v[215:216]
	v_add_f64 v[142:143], v[142:143], v[207:208]
	;; [unrolled: 1-line block ×4, first 2 shown]
	v_add_f64 v[207:208], v[217:218], -v[207:208]
	v_add_f64 v[140:141], v[140:141], v[166:167]
	v_mul_f64 v[213:214], v[207:208], s[24:25]
	v_mul_f64 v[221:222], v[207:208], s[34:35]
	;; [unrolled: 1-line block ×5, first 2 shown]
	v_add_f64 v[140:141], v[140:141], v[158:159]
	v_fma_f64 v[223:224], v[209:210], s[6:7], -v[221:222]
	v_fma_f64 v[221:222], v[209:210], s[6:7], v[221:222]
	v_fma_f64 v[231:232], v[209:210], s[4:5], -v[229:230]
	v_fma_f64 v[229:230], v[209:210], s[4:5], v[229:230]
	v_fma_f64 v[239:240], v[209:210], s[18:19], -v[237:238]
	v_add_f64 v[140:141], v[140:141], v[152:153]
	v_fma_f64 v[237:238], v[209:210], s[18:19], v[237:238]
	v_fma_f64 v[245:246], v[209:210], s[22:23], -v[207:208]
	v_fma_f64 v[207:208], v[209:210], s[22:23], v[207:208]
	v_add_f64 v[223:224], v[144:145], v[223:224]
	v_add_f64 v[221:222], v[144:145], v[221:222]
	;; [unrolled: 1-line block ×12, first 2 shown]
	v_add_f64 v[181:182], v[215:216], -v[181:182]
	v_fma_f64 v[215:216], v[209:210], s[16:17], -v[213:214]
	v_fma_f64 v[213:214], v[209:210], s[16:17], v[213:214]
	v_mul_f64 v[217:218], v[181:182], s[24:25]
	v_mul_f64 v[225:226], v[181:182], s[34:35]
	v_mul_f64 v[233:234], v[181:182], s[14:15]
	v_mul_f64 v[241:242], v[181:182], s[20:21]
	v_mul_f64 v[181:182], v[181:182], s[26:27]
	v_add_f64 v[215:216], v[144:145], v[215:216]
	v_add_f64 v[213:214], v[144:145], v[213:214]
	;; [unrolled: 1-line block ×3, first 2 shown]
	v_fma_f64 v[219:220], v[211:212], s[16:17], v[217:218]
	v_fma_f64 v[217:218], v[211:212], s[16:17], -v[217:218]
	v_fma_f64 v[227:228], v[211:212], s[6:7], v[225:226]
	v_fma_f64 v[225:226], v[211:212], s[6:7], -v[225:226]
	;; [unrolled: 2-line block ×5, first 2 shown]
	v_add_f64 v[207:208], v[172:173], v[176:177]
	v_add_f64 v[172:173], v[172:173], -v[176:177]
	v_add_f64 v[219:220], v[146:147], v[219:220]
	v_add_f64 v[217:218], v[146:147], v[217:218]
	;; [unrolled: 1-line block ×11, first 2 shown]
	v_mul_f64 v[176:177], v[172:173], s[34:35]
	v_add_f64 v[174:175], v[174:175], -v[179:180]
	v_fma_f64 v[179:180], v[181:182], s[6:7], -v[176:177]
	v_fma_f64 v[176:177], v[181:182], s[6:7], v[176:177]
	v_mul_f64 v[209:210], v[174:175], s[34:35]
	v_add_f64 v[179:180], v[179:180], v[215:216]
	v_add_f64 v[176:177], v[176:177], v[213:214]
	v_mul_f64 v[213:214], v[172:173], s[20:21]
	v_fma_f64 v[211:212], v[207:208], s[6:7], v[209:210]
	v_fma_f64 v[209:210], v[207:208], s[6:7], -v[209:210]
	v_fma_f64 v[215:216], v[181:182], s[18:19], -v[213:214]
	v_fma_f64 v[213:214], v[181:182], s[18:19], v[213:214]
	v_add_f64 v[209:210], v[209:210], v[217:218]
	v_mul_f64 v[217:218], v[174:175], s[20:21]
	v_add_f64 v[211:212], v[211:212], v[219:220]
	v_add_f64 v[215:216], v[215:216], v[223:224]
	;; [unrolled: 1-line block ×3, first 2 shown]
	v_mul_f64 v[221:222], v[172:173], s[38:39]
	v_fma_f64 v[219:220], v[207:208], s[18:19], v[217:218]
	v_fma_f64 v[217:218], v[207:208], s[18:19], -v[217:218]
	v_fma_f64 v[223:224], v[181:182], s[22:23], -v[221:222]
	v_fma_f64 v[221:222], v[181:182], s[22:23], v[221:222]
	v_add_f64 v[217:218], v[217:218], v[225:226]
	v_mul_f64 v[225:226], v[174:175], s[38:39]
	v_add_f64 v[219:220], v[219:220], v[227:228]
	v_add_f64 v[223:224], v[223:224], v[231:232]
	;; [unrolled: 1-line block ×3, first 2 shown]
	v_mul_f64 v[229:230], v[172:173], s[36:37]
	v_fma_f64 v[227:228], v[207:208], s[22:23], v[225:226]
	v_fma_f64 v[225:226], v[207:208], s[22:23], -v[225:226]
	v_mul_f64 v[172:173], v[172:173], s[28:29]
	v_fma_f64 v[231:232], v[181:182], s[4:5], -v[229:230]
	v_fma_f64 v[229:230], v[181:182], s[4:5], v[229:230]
	v_add_f64 v[225:226], v[225:226], v[233:234]
	v_mul_f64 v[233:234], v[174:175], s[36:37]
	v_mul_f64 v[174:175], v[174:175], s[28:29]
	v_add_f64 v[227:228], v[227:228], v[235:236]
	v_add_f64 v[231:232], v[231:232], v[239:240]
	;; [unrolled: 1-line block ×3, first 2 shown]
	v_fma_f64 v[237:238], v[181:182], s[16:17], -v[172:173]
	v_fma_f64 v[172:173], v[181:182], s[16:17], v[172:173]
	v_fma_f64 v[239:240], v[207:208], s[16:17], v[174:175]
	;; [unrolled: 1-line block ×3, first 2 shown]
	v_fma_f64 v[233:234], v[207:208], s[4:5], -v[233:234]
	v_add_f64 v[237:238], v[237:238], v[245:246]
	v_add_f64 v[144:145], v[172:173], v[144:145]
	v_fma_f64 v[172:173], v[207:208], s[16:17], -v[174:175]
	v_add_f64 v[174:175], v[164:165], v[168:169]
	v_add_f64 v[164:165], v[164:165], -v[168:169]
	v_add_f64 v[233:234], v[233:234], v[241:242]
	v_add_f64 v[235:236], v[235:236], v[243:244]
	v_add_f64 v[239:240], v[239:240], v[247:248]
	v_add_f64 v[146:147], v[172:173], v[146:147]
	v_add_f64 v[172:173], v[166:167], v[170:171]
	v_mul_f64 v[168:169], v[164:165], s[14:15]
	v_add_f64 v[166:167], v[166:167], -v[170:171]
	v_fma_f64 v[170:171], v[172:173], s[4:5], -v[168:169]
	v_fma_f64 v[168:169], v[172:173], s[4:5], v[168:169]
	v_add_f64 v[170:171], v[170:171], v[179:180]
	v_mul_f64 v[179:180], v[166:167], s[14:15]
	v_add_f64 v[168:169], v[168:169], v[176:177]
	v_fma_f64 v[181:182], v[174:175], s[4:5], v[179:180]
	v_fma_f64 v[176:177], v[174:175], s[4:5], -v[179:180]
	v_mul_f64 v[179:180], v[164:165], s[38:39]
	v_add_f64 v[181:182], v[181:182], v[211:212]
	v_add_f64 v[176:177], v[176:177], v[209:210]
	v_fma_f64 v[207:208], v[172:173], s[22:23], -v[179:180]
	v_fma_f64 v[179:180], v[172:173], s[22:23], v[179:180]
	v_mul_f64 v[209:210], v[166:167], s[38:39]
	v_add_f64 v[207:208], v[207:208], v[215:216]
	v_add_f64 v[179:180], v[179:180], v[213:214]
	v_mul_f64 v[213:214], v[164:165], s[30:31]
	v_fma_f64 v[211:212], v[174:175], s[22:23], v[209:210]
	v_fma_f64 v[209:210], v[174:175], s[22:23], -v[209:210]
	v_fma_f64 v[215:216], v[172:173], s[6:7], -v[213:214]
	v_fma_f64 v[213:214], v[172:173], s[6:7], v[213:214]
	v_add_f64 v[209:210], v[209:210], v[217:218]
	v_mul_f64 v[217:218], v[166:167], s[30:31]
	v_add_f64 v[211:212], v[211:212], v[219:220]
	v_add_f64 v[215:216], v[215:216], v[223:224]
	;; [unrolled: 1-line block ×3, first 2 shown]
	v_mul_f64 v[221:222], v[164:165], s[24:25]
	v_fma_f64 v[219:220], v[174:175], s[6:7], v[217:218]
	v_fma_f64 v[217:218], v[174:175], s[6:7], -v[217:218]
	v_mul_f64 v[164:165], v[164:165], s[20:21]
	v_fma_f64 v[223:224], v[172:173], s[16:17], -v[221:222]
	v_fma_f64 v[221:222], v[172:173], s[16:17], v[221:222]
	v_add_f64 v[217:218], v[217:218], v[225:226]
	v_mul_f64 v[225:226], v[166:167], s[24:25]
	v_mul_f64 v[166:167], v[166:167], s[20:21]
	v_add_f64 v[219:220], v[219:220], v[227:228]
	v_add_f64 v[223:224], v[223:224], v[231:232]
	;; [unrolled: 1-line block ×3, first 2 shown]
	v_fma_f64 v[229:230], v[172:173], s[18:19], -v[164:165]
	v_fma_f64 v[164:165], v[172:173], s[18:19], v[164:165]
	v_fma_f64 v[231:232], v[174:175], s[18:19], v[166:167]
	;; [unrolled: 1-line block ×3, first 2 shown]
	v_fma_f64 v[225:226], v[174:175], s[16:17], -v[225:226]
	v_add_f64 v[229:230], v[229:230], v[237:238]
	v_add_f64 v[144:145], v[164:165], v[144:145]
	v_fma_f64 v[164:165], v[174:175], s[18:19], -v[166:167]
	v_add_f64 v[166:167], v[156:157], v[160:161]
	v_add_f64 v[156:157], v[156:157], -v[160:161]
	v_add_f64 v[225:226], v[225:226], v[233:234]
	v_add_f64 v[227:228], v[227:228], v[235:236]
	v_add_f64 v[235:236], v[148:149], -v[150:151]
	v_add_f64 v[231:232], v[231:232], v[239:240]
	v_add_f64 v[233:234], v[152:153], -v[154:155]
	v_add_f64 v[146:147], v[164:165], v[146:147]
	v_add_f64 v[164:165], v[158:159], v[162:163]
	v_mul_f64 v[160:161], v[156:157], s[20:21]
	v_add_f64 v[158:159], v[158:159], -v[162:163]
	v_fma_f64 v[162:163], v[164:165], s[18:19], -v[160:161]
	v_fma_f64 v[160:161], v[164:165], s[18:19], v[160:161]
	v_add_f64 v[162:163], v[162:163], v[170:171]
	v_mul_f64 v[170:171], v[158:159], s[20:21]
	v_add_f64 v[160:161], v[160:161], v[168:169]
	v_fma_f64 v[172:173], v[166:167], s[18:19], v[170:171]
	v_fma_f64 v[168:169], v[166:167], s[18:19], -v[170:171]
	v_mul_f64 v[170:171], v[156:157], s[36:37]
	v_add_f64 v[172:173], v[172:173], v[181:182]
	v_add_f64 v[168:169], v[168:169], v[176:177]
	v_fma_f64 v[174:175], v[164:165], s[4:5], -v[170:171]
	v_mul_f64 v[176:177], v[158:159], s[36:37]
	v_fma_f64 v[170:171], v[164:165], s[4:5], v[170:171]
	v_add_f64 v[174:175], v[174:175], v[207:208]
	v_fma_f64 v[181:182], v[166:167], s[4:5], v[176:177]
	v_add_f64 v[170:171], v[170:171], v[179:180]
	v_fma_f64 v[176:177], v[166:167], s[4:5], -v[176:177]
	v_mul_f64 v[179:180], v[156:157], s[24:25]
	v_add_f64 v[181:182], v[181:182], v[211:212]
	v_add_f64 v[176:177], v[176:177], v[209:210]
	v_fma_f64 v[207:208], v[164:165], s[16:17], -v[179:180]
	v_mul_f64 v[209:210], v[158:159], s[24:25]
	v_fma_f64 v[179:180], v[164:165], s[16:17], v[179:180]
	v_add_f64 v[207:208], v[207:208], v[215:216]
	v_fma_f64 v[211:212], v[166:167], s[16:17], v[209:210]
	v_add_f64 v[179:180], v[179:180], v[213:214]
	v_fma_f64 v[209:210], v[166:167], s[16:17], -v[209:210]
	v_mul_f64 v[213:214], v[156:157], s[26:27]
	v_mul_f64 v[156:157], v[156:157], s[30:31]
	v_add_f64 v[211:212], v[211:212], v[219:220]
	v_add_f64 v[209:210], v[209:210], v[217:218]
	v_fma_f64 v[215:216], v[164:165], s[22:23], -v[213:214]
	v_mul_f64 v[217:218], v[158:159], s[26:27]
	v_fma_f64 v[213:214], v[164:165], s[22:23], v[213:214]
	v_mul_f64 v[158:159], v[158:159], s[30:31]
	v_add_f64 v[215:216], v[215:216], v[223:224]
	v_fma_f64 v[219:220], v[166:167], s[22:23], v[217:218]
	v_add_f64 v[213:214], v[213:214], v[221:222]
	v_fma_f64 v[217:218], v[166:167], s[22:23], -v[217:218]
	v_fma_f64 v[221:222], v[164:165], s[6:7], -v[156:157]
	v_fma_f64 v[156:157], v[164:165], s[6:7], v[156:157]
	v_fma_f64 v[223:224], v[166:167], s[6:7], v[158:159]
	v_mul_f64 v[164:165], v[235:236], s[20:21]
	v_add_f64 v[219:220], v[219:220], v[227:228]
	v_add_f64 v[217:218], v[217:218], v[225:226]
	;; [unrolled: 1-line block ×4, first 2 shown]
	v_fma_f64 v[144:145], v[166:167], s[6:7], -v[158:159]
	v_add_f64 v[229:230], v[152:153], v[154:155]
	v_add_f64 v[223:224], v[223:224], v[231:232]
	;; [unrolled: 1-line block ×3, first 2 shown]
	v_mul_f64 v[158:159], v[233:234], s[28:29]
	v_mul_f64 v[156:157], v[235:236], s[28:29]
	;; [unrolled: 1-line block ×3, first 2 shown]
	v_add_f64 v[227:228], v[144:145], v[146:147]
	v_mul_f64 v[144:145], v[235:236], s[26:27]
	v_fma_f64 v[154:155], v[231:232], s[16:17], v[158:159]
	v_fma_f64 v[158:159], v[231:232], s[16:17], -v[158:159]
	v_fma_f64 v[152:153], v[229:230], s[16:17], -v[156:157]
	v_fma_f64 v[156:157], v[229:230], s[16:17], v[156:157]
	v_fma_f64 v[146:147], v[229:230], s[22:23], -v[144:145]
	v_fma_f64 v[144:145], v[229:230], s[22:23], v[144:145]
	v_add_f64 v[154:155], v[154:155], v[181:182]
	v_add_f64 v[158:159], v[158:159], v[176:177]
	v_mul_f64 v[176:177], v[235:236], s[14:15]
	v_add_f64 v[152:153], v[152:153], v[174:175]
	v_mul_f64 v[174:175], v[233:234], s[30:31]
	;; [unrolled: 2-line block ×3, first 2 shown]
	v_fma_f64 v[162:163], v[231:232], s[18:19], v[166:167]
	v_fma_f64 v[166:167], v[231:232], s[18:19], -v[166:167]
	v_add_f64 v[144:145], v[144:145], v[160:161]
	v_fma_f64 v[160:161], v[229:230], s[18:19], -v[164:165]
	v_fma_f64 v[164:165], v[229:230], s[18:19], v[164:165]
	v_add_f64 v[156:157], v[156:157], v[170:171]
	v_fma_f64 v[170:171], v[231:232], s[6:7], v[174:175]
	v_fma_f64 v[150:151], v[231:232], s[22:23], v[146:147]
	v_fma_f64 v[146:147], v[231:232], s[22:23], -v[146:147]
	v_add_f64 v[166:167], v[166:167], v[209:210]
	v_mul_f64 v[209:210], v[233:234], s[14:15]
	v_add_f64 v[160:161], v[160:161], v[207:208]
	v_add_f64 v[164:165], v[164:165], v[179:180]
	v_fma_f64 v[179:180], v[229:230], s[4:5], -v[176:177]
	v_fma_f64 v[176:177], v[229:230], s[4:5], v[176:177]
	v_add_f64 v[150:151], v[150:151], v[172:173]
	v_mul_f64 v[172:173], v[235:236], s[30:31]
	v_add_f64 v[146:147], v[146:147], v[168:169]
	v_fma_f64 v[181:182], v[231:232], s[4:5], v[209:210]
	v_fma_f64 v[174:175], v[231:232], s[6:7], -v[174:175]
	v_add_f64 v[162:163], v[162:163], v[211:212]
	v_add_f64 v[170:171], v[170:171], v[219:220]
	;; [unrolled: 1-line block ×3, first 2 shown]
	v_fma_f64 v[176:177], v[231:232], s[4:5], -v[209:210]
	v_fma_f64 v[168:169], v[229:230], s[6:7], -v[172:173]
	v_fma_f64 v[172:173], v[229:230], s[6:7], v[172:173]
	v_add_f64 v[179:180], v[179:180], v[221:222]
	v_add_f64 v[181:182], v[181:182], v[223:224]
	;; [unrolled: 1-line block ×3, first 2 shown]
	s_movk_i32 s4, 0x7900
	s_movk_i32 s6, 0x7000
	v_add_f64 v[209:210], v[176:177], v[227:228]
	v_add_f64 v[168:169], v[168:169], v[215:216]
	;; [unrolled: 1-line block ×3, first 2 shown]
	ds_write_b128 v185, v[140:143]
	ds_write_b128 v185, v[148:151] offset:2816
	ds_write_b128 v185, v[152:155] offset:5632
	;; [unrolled: 1-line block ×10, first 2 shown]
	v_add_co_u32_e32 v140, vcc, s4, v186
	v_addc_co_u32_e32 v141, vcc, 0, v178, vcc
	v_add_co_u32_e32 v142, vcc, s6, v186
	v_addc_co_u32_e32 v143, vcc, 0, v178, vcc
	s_waitcnt lgkmcnt(0)
	s_barrier
	global_load_dwordx4 v[152:155], v[142:143], off offset:2304
	ds_read_b128 v[148:151], v185
	s_mov_b32 s4, 0xb000
	s_waitcnt vmcnt(0) lgkmcnt(0)
	v_mul_f64 v[142:143], v[150:151], v[154:155]
	v_fma_f64 v[156:157], v[148:149], v[152:153], -v[142:143]
	v_mul_f64 v[142:143], v[148:149], v[154:155]
	v_fma_f64 v[158:159], v[150:151], v[152:153], v[142:143]
	v_add_co_u32_e32 v142, vcc, s4, v186
	v_addc_co_u32_e32 v143, vcc, 0, v178, vcc
	global_load_dwordx4 v[152:155], v[142:143], off offset:1408
	ds_read_b128 v[148:151], v185 offset:15488
	s_mov_b32 s4, 0xc000
	ds_write_b128 v185, v[156:159]
	s_waitcnt vmcnt(0) lgkmcnt(1)
	v_mul_f64 v[142:143], v[150:151], v[154:155]
	v_fma_f64 v[156:157], v[148:149], v[152:153], -v[142:143]
	v_mul_f64 v[142:143], v[148:149], v[154:155]
	v_fma_f64 v[158:159], v[150:151], v[152:153], v[142:143]
	global_load_dwordx4 v[152:155], v[140:141], off offset:2816
	ds_read_b128 v[148:151], v185 offset:2816
	ds_write_b128 v185, v[156:159] offset:15488
	s_waitcnt vmcnt(0) lgkmcnt(1)
	v_mul_f64 v[142:143], v[150:151], v[154:155]
	v_fma_f64 v[156:157], v[148:149], v[152:153], -v[142:143]
	v_mul_f64 v[142:143], v[148:149], v[154:155]
	v_fma_f64 v[158:159], v[150:151], v[152:153], v[142:143]
	v_add_co_u32_e32 v142, vcc, s4, v186
	v_addc_co_u32_e32 v143, vcc, 0, v178, vcc
	global_load_dwordx4 v[152:155], v[142:143], off offset:128
	ds_read_b128 v[148:151], v185 offset:18304
	s_mov_b32 s4, 0x8000
	ds_write_b128 v185, v[156:159] offset:2816
	s_waitcnt vmcnt(0) lgkmcnt(1)
	v_mul_f64 v[156:157], v[150:151], v[154:155]
	v_fma_f64 v[156:157], v[148:149], v[152:153], -v[156:157]
	v_mul_f64 v[148:149], v[148:149], v[154:155]
	v_fma_f64 v[158:159], v[150:151], v[152:153], v[148:149]
	v_add_co_u32_e32 v152, vcc, s4, v186
	v_addc_co_u32_e32 v153, vcc, 0, v178, vcc
	global_load_dwordx4 v[152:155], v[152:153], off offset:3840
	ds_read_b128 v[148:151], v185 offset:5632
	s_mov_b32 s4, 0x9000
	ds_write_b128 v185, v[156:159] offset:18304
	s_waitcnt vmcnt(0) lgkmcnt(1)
	v_mul_f64 v[156:157], v[150:151], v[154:155]
	v_fma_f64 v[156:157], v[148:149], v[152:153], -v[156:157]
	v_mul_f64 v[148:149], v[148:149], v[154:155]
	v_fma_f64 v[158:159], v[150:151], v[152:153], v[148:149]
	global_load_dwordx4 v[152:155], v[142:143], off offset:2944
	ds_read_b128 v[148:151], v185 offset:21120
	ds_write_b128 v185, v[156:159] offset:5632
	s_waitcnt vmcnt(0) lgkmcnt(1)
	v_mul_f64 v[142:143], v[150:151], v[154:155]
	v_fma_f64 v[156:157], v[148:149], v[152:153], -v[142:143]
	v_mul_f64 v[142:143], v[148:149], v[154:155]
	v_fma_f64 v[158:159], v[150:151], v[152:153], v[142:143]
	v_add_co_u32_e32 v142, vcc, s4, v186
	v_addc_co_u32_e32 v143, vcc, 0, v178, vcc
	global_load_dwordx4 v[152:155], v[142:143], off offset:2560
	ds_read_b128 v[148:151], v185 offset:8448
	s_mov_b32 s4, 0xd000
	ds_write_b128 v185, v[156:159] offset:21120
	s_waitcnt vmcnt(0) lgkmcnt(1)
	v_mul_f64 v[142:143], v[150:151], v[154:155]
	v_fma_f64 v[156:157], v[148:149], v[152:153], -v[142:143]
	v_mul_f64 v[142:143], v[148:149], v[154:155]
	v_fma_f64 v[158:159], v[150:151], v[152:153], v[142:143]
	v_add_co_u32_e32 v142, vcc, s4, v186
	v_addc_co_u32_e32 v143, vcc, 0, v178, vcc
	global_load_dwordx4 v[152:155], v[142:143], off offset:1664
	ds_read_b128 v[148:151], v185 offset:23936
	s_mov_b32 s4, 0xa000
	;; [unrolled: 11-line block ×3, first 2 shown]
	ds_write_b128 v185, v[156:159] offset:23936
	s_waitcnt vmcnt(0) lgkmcnt(1)
	v_mul_f64 v[142:143], v[150:151], v[154:155]
	v_fma_f64 v[156:157], v[148:149], v[152:153], -v[142:143]
	v_mul_f64 v[142:143], v[148:149], v[154:155]
	v_fma_f64 v[158:159], v[150:151], v[152:153], v[142:143]
	v_add_co_u32_e32 v142, vcc, s4, v186
	v_addc_co_u32_e32 v143, vcc, 0, v178, vcc
	global_load_dwordx4 v[152:155], v[142:143], off offset:384
	ds_read_b128 v[148:151], v185 offset:26752
	ds_write_b128 v185, v[156:159] offset:11264
	s_waitcnt vmcnt(0) lgkmcnt(1)
	v_mul_f64 v[142:143], v[150:151], v[154:155]
	v_fma_f64 v[156:157], v[148:149], v[152:153], -v[142:143]
	v_mul_f64 v[142:143], v[148:149], v[154:155]
	v_fma_f64 v[158:159], v[150:151], v[152:153], v[142:143]
	ds_write_b128 v185, v[156:159] offset:26752
	s_and_saveexec_b64 s[4:5], s[0:1]
	s_cbranch_execz .LBB0_17
; %bb.16:
	v_add_co_u32_e32 v142, vcc, 0x3000, v140
	v_addc_co_u32_e32 v143, vcc, 0, v141, vcc
	v_add_co_u32_e32 v140, vcc, s6, v140
	global_load_dwordx4 v[148:151], v[142:143], off offset:1792
	v_addc_co_u32_e32 v141, vcc, 0, v141, vcc
	global_load_dwordx4 v[140:143], v[140:141], off offset:896
	ds_read_b128 v[152:155], v185 offset:14080
	ds_read_b128 v[156:159], v185 offset:29568
	s_waitcnt vmcnt(1) lgkmcnt(1)
	v_mul_f64 v[160:161], v[154:155], v[150:151]
	v_mul_f64 v[162:163], v[152:153], v[150:151]
	s_waitcnt vmcnt(0) lgkmcnt(0)
	v_mul_f64 v[164:165], v[158:159], v[142:143]
	v_mul_f64 v[142:143], v[156:157], v[142:143]
	v_fma_f64 v[150:151], v[152:153], v[148:149], -v[160:161]
	v_fma_f64 v[152:153], v[154:155], v[148:149], v[162:163]
	v_fma_f64 v[154:155], v[156:157], v[140:141], -v[164:165]
	v_fma_f64 v[156:157], v[158:159], v[140:141], v[142:143]
	ds_write_b128 v185, v[150:153] offset:14080
	ds_write_b128 v185, v[154:157] offset:29568
.LBB0_17:
	s_or_b64 exec, exec, s[4:5]
	s_waitcnt lgkmcnt(0)
	s_barrier
	ds_read_b128 v[164:167], v185
	ds_read_b128 v[168:171], v185 offset:2816
	ds_read_b128 v[176:179], v185 offset:18304
	;; [unrolled: 1-line block ×9, first 2 shown]
	s_and_saveexec_b64 s[4:5], s[0:1]
	s_cbranch_execz .LBB0_19
; %bb.18:
	ds_read_b128 v[144:147], v185 offset:14080
	ds_read_b128 v[96:99], v185 offset:29568
.LBB0_19:
	s_or_b64 exec, exec, s[4:5]
	s_waitcnt lgkmcnt(3)
	v_add_f64 v[180:181], v[164:165], -v[180:181]
	v_add_f64 v[182:183], v[166:167], -v[182:183]
	s_waitcnt lgkmcnt(1)
	v_add_f64 v[160:161], v[140:141], -v[160:161]
	v_add_f64 v[162:163], v[142:143], -v[162:163]
	;; [unrolled: 3-line block ×3, first 2 shown]
	v_add_f64 v[176:177], v[168:169], -v[176:177]
	v_add_f64 v[178:179], v[170:171], -v[178:179]
	v_add_f64 v[172:173], v[148:149], -v[172:173]
	v_add_f64 v[174:175], v[150:151], -v[174:175]
	v_fma_f64 v[164:165], v[164:165], 2.0, -v[180:181]
	v_fma_f64 v[166:167], v[166:167], 2.0, -v[182:183]
	v_add_f64 v[156:157], v[152:153], -v[156:157]
	v_add_f64 v[158:159], v[154:155], -v[158:159]
	v_fma_f64 v[207:208], v[140:141], 2.0, -v[160:161]
	v_fma_f64 v[209:210], v[142:143], 2.0, -v[162:163]
	;; [unrolled: 1-line block ×10, first 2 shown]
	s_barrier
	ds_write_b128 v192, v[164:167]
	ds_write_b128 v192, v[180:183] offset:16
	ds_write_b128 v193, v[168:171]
	ds_write_b128 v193, v[176:179] offset:16
	;; [unrolled: 2-line block ×5, first 2 shown]
	s_and_saveexec_b64 s[4:5], s[0:1]
	s_cbranch_execz .LBB0_21
; %bb.20:
	ds_write_b128 v191, v[140:143]
	ds_write_b128 v191, v[96:99] offset:16
.LBB0_21:
	s_or_b64 exec, exec, s[4:5]
	s_waitcnt lgkmcnt(0)
	s_barrier
	ds_read_b128 v[160:163], v185
	ds_read_b128 v[144:147], v185 offset:2816
	ds_read_b128 v[168:171], v185 offset:18304
	;; [unrolled: 1-line block ×9, first 2 shown]
	s_and_saveexec_b64 s[4:5], s[0:1]
	s_cbranch_execz .LBB0_23
; %bb.22:
	ds_read_b128 v[140:143], v185 offset:14080
	ds_read_b128 v[96:99], v185 offset:29568
.LBB0_23:
	s_or_b64 exec, exec, s[4:5]
	s_waitcnt lgkmcnt(3)
	v_mul_f64 v[191:192], v[42:43], v[182:183]
	v_mul_f64 v[193:194], v[42:43], v[180:181]
	;; [unrolled: 1-line block ×6, first 2 shown]
	s_waitcnt lgkmcnt(1)
	v_mul_f64 v[213:214], v[42:43], v[178:179]
	v_mul_f64 v[215:216], v[42:43], v[176:177]
	v_fma_f64 v[180:181], v[40:41], v[180:181], v[191:192]
	v_fma_f64 v[182:183], v[40:41], v[182:183], -v[193:194]
	v_fma_f64 v[191:192], v[40:41], v[168:169], v[195:196]
	v_fma_f64 v[193:194], v[40:41], v[170:171], -v[207:208]
	;; [unrolled: 2-line block ×4, first 2 shown]
	s_waitcnt lgkmcnt(0)
	v_mul_f64 v[176:177], v[42:43], v[166:167]
	v_mul_f64 v[178:179], v[42:43], v[164:165]
	;; [unrolled: 1-line block ×4, first 2 shown]
	v_add_f64 v[172:173], v[144:145], -v[191:192]
	v_add_f64 v[174:175], v[146:147], -v[193:194]
	;; [unrolled: 1-line block ×4, first 2 shown]
	v_fma_f64 v[191:192], v[40:41], v[164:165], v[176:177]
	v_fma_f64 v[193:194], v[40:41], v[166:167], -v[178:179]
	v_fma_f64 v[213:214], v[40:41], v[96:97], v[213:214]
	v_fma_f64 v[40:41], v[40:41], v[98:99], -v[42:43]
	v_fma_f64 v[164:165], v[144:145], 2.0, -v[172:173]
	v_fma_f64 v[166:167], v[146:147], 2.0, -v[174:175]
	v_add_f64 v[176:177], v[152:153], -v[195:196]
	v_add_f64 v[178:179], v[154:155], -v[207:208]
	;; [unrolled: 1-line block ×8, first 2 shown]
	v_fma_f64 v[160:161], v[160:161], 2.0, -v[168:169]
	v_fma_f64 v[162:163], v[162:163], 2.0, -v[170:171]
	;; [unrolled: 1-line block ×10, first 2 shown]
	s_barrier
	ds_write_b128 v197, v[160:163]
	ds_write_b128 v197, v[168:171] offset:32
	ds_write_b128 v198, v[164:167]
	ds_write_b128 v198, v[172:175] offset:32
	;; [unrolled: 2-line block ×5, first 2 shown]
	s_and_saveexec_b64 s[4:5], s[0:1]
	s_cbranch_execz .LBB0_25
; %bb.24:
	s_movk_i32 s6, 0x7fc
	v_and_or_b32 v148, v202, s6, v189
	v_lshlrev_b32_e32 v148, 4, v148
	ds_write_b128 v148, v[140:143]
	ds_write_b128 v148, v[144:147] offset:32
.LBB0_25:
	s_or_b64 exec, exec, s[4:5]
	s_waitcnt lgkmcnt(0)
	s_barrier
	ds_read_b128 v[148:151], v185
	ds_read_b128 v[152:155], v185 offset:2816
	ds_read_b128 v[172:175], v185 offset:7744
	;; [unrolled: 1-line block ×7, first 2 shown]
	s_and_saveexec_b64 s[4:5], s[2:3]
	s_cbranch_execz .LBB0_27
; %bb.26:
	ds_read_b128 v[40:43], v185 offset:5632
	ds_read_b128 v[96:99], v185 offset:13376
	;; [unrolled: 1-line block ×4, first 2 shown]
.LBB0_27:
	s_or_b64 exec, exec, s[4:5]
	s_waitcnt lgkmcnt(5)
	v_mul_f64 v[180:181], v[54:55], v[174:175]
	v_mul_f64 v[182:183], v[54:55], v[172:173]
	s_waitcnt lgkmcnt(3)
	v_mul_f64 v[191:192], v[50:51], v[178:179]
	v_mul_f64 v[193:194], v[50:51], v[176:177]
	;; [unrolled: 3-line block ×4, first 2 shown]
	v_fma_f64 v[172:173], v[52:53], v[172:173], v[180:181]
	v_mul_f64 v[180:181], v[46:47], v[168:169]
	v_fma_f64 v[174:175], v[52:53], v[174:175], -v[182:183]
	v_fma_f64 v[176:177], v[48:49], v[176:177], v[191:192]
	v_fma_f64 v[178:179], v[48:49], v[178:179], -v[193:194]
	v_mul_f64 v[182:183], v[54:55], v[158:159]
	v_mul_f64 v[191:192], v[54:55], v[156:157]
	;; [unrolled: 1-line block ×3, first 2 shown]
	v_fma_f64 v[168:169], v[44:45], v[168:169], v[195:196]
	v_fma_f64 v[170:171], v[44:45], v[170:171], -v[180:181]
	v_fma_f64 v[162:163], v[48:49], v[162:163], -v[197:198]
	v_fma_f64 v[164:165], v[44:45], v[164:165], v[199:200]
	v_fma_f64 v[166:167], v[44:45], v[166:167], -v[201:202]
	v_fma_f64 v[156:157], v[52:53], v[156:157], v[182:183]
	v_fma_f64 v[158:159], v[52:53], v[158:159], -v[191:192]
	v_fma_f64 v[160:161], v[48:49], v[160:161], v[193:194]
	v_add_f64 v[176:177], v[148:149], -v[176:177]
	v_add_f64 v[178:179], v[150:151], -v[178:179]
	;; [unrolled: 1-line block ×8, first 2 shown]
	v_fma_f64 v[164:165], v[148:149], 2.0, -v[176:177]
	v_fma_f64 v[166:167], v[150:151], 2.0, -v[178:179]
	v_fma_f64 v[148:149], v[172:173], 2.0, -v[168:169]
	v_fma_f64 v[150:151], v[174:175], 2.0, -v[170:171]
	v_fma_f64 v[174:175], v[154:155], 2.0, -v[182:183]
	v_fma_f64 v[156:157], v[156:157], 2.0, -v[162:163]
	v_fma_f64 v[172:173], v[152:153], 2.0, -v[180:181]
	v_fma_f64 v[158:159], v[158:159], 2.0, -v[160:161]
	v_add_f64 v[152:153], v[176:177], v[170:171]
	v_add_f64 v[154:155], v[178:179], -v[168:169]
	v_add_f64 v[148:149], v[164:165], -v[148:149]
	;; [unrolled: 1-line block ×3, first 2 shown]
	v_add_f64 v[160:161], v[180:181], v[160:161]
	v_add_f64 v[162:163], v[182:183], -v[162:163]
	v_add_f64 v[156:157], v[172:173], -v[156:157]
	;; [unrolled: 1-line block ×3, first 2 shown]
	v_fma_f64 v[168:169], v[176:177], 2.0, -v[152:153]
	v_fma_f64 v[170:171], v[178:179], 2.0, -v[154:155]
	v_fma_f64 v[164:165], v[164:165], 2.0, -v[148:149]
	v_fma_f64 v[166:167], v[166:167], 2.0, -v[150:151]
	v_fma_f64 v[176:177], v[180:181], 2.0, -v[160:161]
	v_fma_f64 v[178:179], v[182:183], 2.0, -v[162:163]
	v_fma_f64 v[172:173], v[172:173], 2.0, -v[156:157]
	v_fma_f64 v[174:175], v[174:175], 2.0, -v[158:159]
	s_barrier
	ds_write_b128 v204, v[164:167]
	ds_write_b128 v204, v[168:171] offset:64
	ds_write_b128 v204, v[148:151] offset:128
	;; [unrolled: 1-line block ×3, first 2 shown]
	ds_write_b128 v203, v[172:175]
	ds_write_b128 v203, v[176:179] offset:64
	ds_write_b128 v203, v[156:159] offset:128
	;; [unrolled: 1-line block ×3, first 2 shown]
	s_and_saveexec_b64 s[4:5], s[2:3]
	s_cbranch_execz .LBB0_29
; %bb.28:
	v_mul_f64 v[148:149], v[50:51], v[140:141]
	v_mul_f64 v[150:151], v[54:55], v[98:99]
	;; [unrolled: 1-line block ×6, first 2 shown]
	s_movk_i32 s2, 0xff0
	v_fma_f64 v[142:143], v[48:49], v[142:143], -v[148:149]
	v_fma_f64 v[96:97], v[52:53], v[96:97], v[150:151]
	v_fma_f64 v[52:53], v[52:53], v[98:99], -v[54:55]
	v_fma_f64 v[54:55], v[44:45], v[146:147], -v[152:153]
	v_fma_f64 v[48:49], v[48:49], v[140:141], v[50:51]
	v_fma_f64 v[44:45], v[44:45], v[144:145], v[46:47]
	v_add_f64 v[50:51], v[42:43], -v[142:143]
	v_add_f64 v[46:47], v[52:53], -v[54:55]
	;; [unrolled: 1-line block ×4, first 2 shown]
	v_fma_f64 v[54:55], v[42:43], 2.0, -v[50:51]
	v_fma_f64 v[52:53], v[52:53], 2.0, -v[46:47]
	;; [unrolled: 1-line block ×4, first 2 shown]
	v_add_f64 v[42:43], v[50:51], -v[44:45]
	v_add_f64 v[40:41], v[48:49], v[46:47]
	v_add_f64 v[46:47], v[54:55], -v[52:53]
	v_add_f64 v[44:45], v[98:99], -v[96:97]
	v_fma_f64 v[50:51], v[50:51], 2.0, -v[42:43]
	v_fma_f64 v[48:49], v[48:49], 2.0, -v[40:41]
	v_and_or_b32 v96, v205, s2, v190
	v_lshlrev_b32_e32 v96, 4, v96
	v_fma_f64 v[54:55], v[54:55], 2.0, -v[46:47]
	v_fma_f64 v[52:53], v[98:99], 2.0, -v[44:45]
	ds_write_b128 v96, v[48:51] offset:64
	ds_write_b128 v96, v[44:47] offset:128
	ds_write_b128 v96, v[52:55]
	ds_write_b128 v96, v[40:43] offset:192
.LBB0_29:
	s_or_b64 exec, exec, s[4:5]
	s_waitcnt lgkmcnt(0)
	s_barrier
	ds_read_b128 v[40:43], v185 offset:2816
	ds_read_b128 v[48:51], v185 offset:8448
	;; [unrolled: 1-line block ×3, first 2 shown]
	s_mov_b32 s14, 0xf8bb580b
	s_mov_b32 s2, 0x8eee2c13
	s_waitcnt lgkmcnt(2)
	v_mul_f64 v[52:53], v[82:83], v[42:43]
	v_mul_f64 v[54:55], v[82:83], v[40:41]
	s_waitcnt lgkmcnt(1)
	v_mul_f64 v[98:99], v[70:71], v[50:51]
	v_mul_f64 v[70:71], v[70:71], v[48:49]
	s_mov_b32 s18, 0x43842ef
	s_mov_b32 s26, 0xbb3a28a1
	;; [unrolled: 1-line block ×4, first 2 shown]
	v_fma_f64 v[96:97], v[80:81], v[40:41], v[52:53]
	v_fma_f64 v[80:81], v[80:81], v[42:43], -v[54:55]
	ds_read_b128 v[52:55], v185
	s_waitcnt lgkmcnt(1)
	v_mul_f64 v[82:83], v[78:79], v[46:47]
	v_mul_f64 v[78:79], v[78:79], v[44:45]
	ds_read_b128 v[40:43], v185 offset:11264
	v_fma_f64 v[98:99], v[68:69], v[48:49], v[98:99]
	v_fma_f64 v[144:145], v[68:69], v[50:51], -v[70:71]
	s_mov_b32 s3, 0xbfed1bb4
	s_mov_b32 s19, 0xbfefac9e
	;; [unrolled: 1-line block ×3, first 2 shown]
	v_fma_f64 v[82:83], v[76:77], v[44:45], v[82:83]
	v_fma_f64 v[140:141], v[76:77], v[46:47], -v[78:79]
	ds_read_b128 v[44:47], v185 offset:14080
	s_waitcnt lgkmcnt(2)
	v_add_f64 v[76:77], v[52:53], v[96:97]
	v_add_f64 v[78:79], v[54:55], v[80:81]
	s_waitcnt lgkmcnt(1)
	v_mul_f64 v[142:143], v[62:63], v[42:43]
	v_mul_f64 v[62:63], v[62:63], v[40:41]
	s_waitcnt lgkmcnt(0)
	v_mul_f64 v[146:147], v[90:91], v[46:47]
	v_mul_f64 v[90:91], v[90:91], v[44:45]
	ds_read_b128 v[48:51], v185 offset:16896
	ds_read_b128 v[68:71], v185 offset:19712
	s_mov_b32 s35, 0xbfd207e7
	v_add_f64 v[76:77], v[76:77], v[82:83]
	v_add_f64 v[78:79], v[78:79], v[140:141]
	v_fma_f64 v[142:143], v[60:61], v[40:41], v[142:143]
	v_fma_f64 v[148:149], v[60:61], v[42:43], -v[62:63]
	s_waitcnt lgkmcnt(1)
	v_mul_f64 v[154:155], v[74:75], v[50:51]
	v_mul_f64 v[74:75], v[74:75], v[48:49]
	v_fma_f64 v[44:45], v[88:89], v[44:45], v[146:147]
	v_fma_f64 v[46:47], v[88:89], v[46:47], -v[90:91]
	v_add_f64 v[150:151], v[76:77], v[98:99]
	v_add_f64 v[152:153], v[78:79], v[144:145]
	ds_read_b128 v[40:43], v185 offset:22528
	ds_read_b128 v[60:63], v185 offset:25344
	;; [unrolled: 1-line block ×3, first 2 shown]
	s_waitcnt lgkmcnt(3)
	v_mul_f64 v[146:147], v[66:67], v[70:71]
	v_mul_f64 v[66:67], v[66:67], v[68:69]
	v_fma_f64 v[48:49], v[72:73], v[48:49], v[154:155]
	v_fma_f64 v[50:51], v[72:73], v[50:51], -v[74:75]
	s_mov_b32 s6, 0x8764f0ba
	v_add_f64 v[88:89], v[150:151], v[142:143]
	v_add_f64 v[90:91], v[152:153], v[148:149]
	s_mov_b32 s4, 0xd9c712b6
	v_fma_f64 v[68:69], v[64:65], v[68:69], v[146:147]
	v_fma_f64 v[64:65], v[64:65], v[70:71], -v[66:67]
	s_mov_b32 s22, 0x640f44db
	s_mov_b32 s28, 0x7f775887
	;; [unrolled: 1-line block ×3, first 2 shown]
	v_add_f64 v[72:73], v[88:89], v[44:45]
	v_add_f64 v[74:75], v[90:91], v[46:47]
	s_waitcnt lgkmcnt(0)
	v_mul_f64 v[88:89], v[86:87], v[76:77]
	v_mul_f64 v[90:91], v[58:59], v[42:43]
	;; [unrolled: 1-line block ×3, first 2 shown]
	s_mov_b32 s7, 0x3feaeb8c
	s_mov_b32 s5, 0x3fda9628
	;; [unrolled: 1-line block ×3, first 2 shown]
	v_add_f64 v[66:67], v[72:73], v[48:49]
	v_add_f64 v[70:71], v[74:75], v[50:51]
	v_mul_f64 v[72:73], v[86:87], v[78:79]
	v_fma_f64 v[74:75], v[84:85], v[78:79], -v[88:89]
	v_mul_f64 v[78:79], v[94:95], v[62:63]
	v_mul_f64 v[86:87], v[94:95], v[60:61]
	v_fma_f64 v[88:89], v[56:57], v[40:41], v[90:91]
	v_fma_f64 v[56:57], v[56:57], v[42:43], -v[58:59]
	v_add_f64 v[40:41], v[66:67], v[68:69]
	v_add_f64 v[42:43], v[70:71], v[64:65]
	v_fma_f64 v[58:59], v[84:85], v[76:77], v[72:73]
	v_add_f64 v[66:67], v[80:81], -v[74:75]
	v_fma_f64 v[60:61], v[92:93], v[60:61], v[78:79]
	v_fma_f64 v[62:63], v[92:93], v[62:63], -v[86:87]
	v_add_f64 v[70:71], v[80:81], v[74:75]
	s_mov_b32 s29, 0xbfe4f49e
	v_add_f64 v[40:41], v[40:41], v[88:89]
	v_add_f64 v[42:43], v[42:43], v[56:57]
	;; [unrolled: 1-line block ×3, first 2 shown]
	v_mul_f64 v[76:77], v[66:67], s[14:15]
	v_mul_f64 v[86:87], v[66:67], s[2:3]
	;; [unrolled: 1-line block ×5, first 2 shown]
	s_mov_b32 s37, 0xbfeeb42a
	v_add_f64 v[78:79], v[96:97], -v[58:59]
	v_mul_f64 v[80:81], v[70:71], s[6:7]
	v_add_f64 v[40:41], v[40:41], v[60:61]
	v_add_f64 v[42:43], v[42:43], v[62:63]
	v_fma_f64 v[84:85], v[72:73], s[6:7], v[76:77]
	v_mul_f64 v[90:91], v[70:71], s[4:5]
	v_mul_f64 v[146:147], v[70:71], s[22:23]
	;; [unrolled: 1-line block ×4, first 2 shown]
	v_add_f64 v[160:161], v[140:141], -v[62:63]
	v_add_f64 v[62:63], v[140:141], v[62:63]
	v_fma_f64 v[140:141], v[72:73], s[36:37], v[66:67]
	s_mov_b32 s21, 0x3fe14ced
	s_mov_b32 s20, s14
	;; [unrolled: 1-line block ×9, first 2 shown]
	v_fma_f64 v[92:93], v[78:79], s[20:21], v[80:81]
	v_add_f64 v[40:41], v[40:41], v[58:59]
	v_add_f64 v[42:43], v[42:43], v[74:75]
	v_fma_f64 v[58:59], v[72:73], s[6:7], -v[76:77]
	v_add_f64 v[74:75], v[52:53], v[84:85]
	v_fma_f64 v[76:77], v[78:79], s[14:15], v[80:81]
	v_fma_f64 v[80:81], v[72:73], s[4:5], v[86:87]
	v_fma_f64 v[84:85], v[78:79], s[16:17], v[90:91]
	v_fma_f64 v[86:87], v[72:73], s[4:5], -v[86:87]
	v_fma_f64 v[90:91], v[78:79], s[2:3], v[90:91]
	v_fma_f64 v[96:97], v[72:73], s[22:23], v[94:95]
	v_fma_f64 v[154:155], v[78:79], s[24:25], v[146:147]
	v_fma_f64 v[94:95], v[72:73], s[22:23], -v[94:95]
	;; [unrolled: 4-line block ×3, first 2 shown]
	v_fma_f64 v[152:153], v[78:79], s[26:27], v[152:153]
	v_fma_f64 v[162:163], v[78:79], s[38:39], v[70:71]
	v_add_f64 v[164:165], v[82:83], v[60:61]
	v_add_f64 v[60:61], v[82:83], -v[60:61]
	v_mul_f64 v[82:83], v[160:161], s[2:3]
	v_mul_f64 v[166:167], v[62:63], s[4:5]
	v_fma_f64 v[66:67], v[72:73], s[36:37], -v[66:67]
	v_fma_f64 v[70:71], v[78:79], s[34:35], v[70:71]
	v_add_f64 v[72:73], v[52:53], v[140:141]
	v_mul_f64 v[140:141], v[160:161], s[26:27]
	v_add_f64 v[92:93], v[54:55], v[92:93]
	v_add_f64 v[58:59], v[52:53], v[58:59]
	;; [unrolled: 1-line block ×16, first 2 shown]
	v_mul_f64 v[162:163], v[62:63], s[28:29]
	v_fma_f64 v[168:169], v[164:165], s[4:5], v[82:83]
	v_fma_f64 v[170:171], v[60:61], s[16:17], v[166:167]
	v_add_f64 v[52:53], v[52:53], v[66:67]
	v_add_f64 v[54:55], v[54:55], v[70:71]
	v_fma_f64 v[66:67], v[164:165], s[4:5], -v[82:83]
	v_fma_f64 v[70:71], v[60:61], s[2:3], v[166:167]
	v_fma_f64 v[82:83], v[164:165], s[28:29], v[140:141]
	;; [unrolled: 1-line block ×3, first 2 shown]
	v_add_f64 v[74:75], v[168:169], v[74:75]
	v_add_f64 v[92:93], v[170:171], v[92:93]
	v_mul_f64 v[170:171], v[62:63], s[36:37]
	v_mul_f64 v[168:169], v[160:161], s[38:39]
	v_add_f64 v[58:59], v[66:67], v[58:59]
	v_add_f64 v[66:67], v[70:71], v[76:77]
	;; [unrolled: 1-line block ×3, first 2 shown]
	v_fma_f64 v[82:83], v[60:61], s[26:27], v[162:163]
	v_mul_f64 v[162:163], v[160:161], s[24:25]
	v_add_f64 v[76:77], v[166:167], v[84:85]
	v_fma_f64 v[80:81], v[164:165], s[28:29], -v[140:141]
	v_fma_f64 v[140:141], v[60:61], s[34:35], v[170:171]
	v_mul_f64 v[166:167], v[62:63], s[22:23]
	v_fma_f64 v[170:171], v[60:61], s[38:39], v[170:171]
	v_fma_f64 v[84:85], v[164:165], s[36:37], v[168:169]
	v_add_f64 v[82:83], v[82:83], v[90:91]
	v_fma_f64 v[90:91], v[164:165], s[22:23], v[162:163]
	v_mul_f64 v[160:161], v[160:161], s[20:21]
	v_add_f64 v[80:81], v[80:81], v[86:87]
	v_add_f64 v[86:87], v[140:141], v[154:155]
	v_fma_f64 v[154:155], v[60:61], s[24:25], v[166:167]
	v_add_f64 v[140:141], v[170:171], v[146:147]
	v_fma_f64 v[146:147], v[164:165], s[22:23], -v[162:163]
	v_mul_f64 v[62:63], v[62:63], s[6:7]
	v_add_f64 v[90:91], v[90:91], v[156:157]
	v_add_f64 v[156:157], v[144:145], -v[56:57]
	v_add_f64 v[84:85], v[84:85], v[96:97]
	v_fma_f64 v[96:97], v[60:61], s[18:19], v[166:167]
	v_add_f64 v[56:57], v[144:145], v[56:57]
	v_fma_f64 v[168:169], v[164:165], s[36:37], -v[168:169]
	v_add_f64 v[144:145], v[146:147], v[150:151]
	v_add_f64 v[146:147], v[154:155], v[152:153]
	v_fma_f64 v[150:151], v[164:165], s[6:7], v[160:161]
	v_fma_f64 v[152:153], v[60:61], s[14:15], v[62:63]
	v_add_f64 v[154:155], v[98:99], v[88:89]
	v_add_f64 v[88:89], v[98:99], -v[88:89]
	v_mul_f64 v[98:99], v[156:157], s[18:19]
	v_add_f64 v[96:97], v[96:97], v[158:159]
	v_mul_f64 v[158:159], v[56:57], s[22:23]
	v_fma_f64 v[160:161], v[164:165], s[6:7], -v[160:161]
	v_fma_f64 v[60:61], v[60:61], s[20:21], v[62:63]
	v_add_f64 v[62:63], v[150:151], v[72:73]
	v_add_f64 v[72:73], v[152:153], v[78:79]
	v_mul_f64 v[78:79], v[156:157], s[38:39]
	v_mul_f64 v[150:151], v[56:57], s[36:37]
	v_fma_f64 v[152:153], v[154:155], s[22:23], v[98:99]
	v_fma_f64 v[162:163], v[88:89], s[24:25], v[158:159]
	v_add_f64 v[52:53], v[160:161], v[52:53]
	v_add_f64 v[54:55], v[60:61], v[54:55]
	v_fma_f64 v[60:61], v[154:155], s[22:23], -v[98:99]
	v_fma_f64 v[98:99], v[88:89], s[18:19], v[158:159]
	v_fma_f64 v[158:159], v[154:155], s[36:37], v[78:79]
	;; [unrolled: 1-line block ×3, first 2 shown]
	v_add_f64 v[74:75], v[152:153], v[74:75]
	v_mul_f64 v[152:153], v[156:157], s[16:17]
	v_add_f64 v[92:93], v[162:163], v[92:93]
	v_mul_f64 v[162:163], v[56:57], s[4:5]
	v_add_f64 v[58:59], v[60:61], v[58:59]
	v_add_f64 v[60:61], v[98:99], v[66:67]
	;; [unrolled: 1-line block ×4, first 2 shown]
	v_fma_f64 v[76:77], v[154:155], s[36:37], -v[78:79]
	v_fma_f64 v[98:99], v[154:155], s[4:5], v[152:153]
	v_mul_f64 v[158:159], v[156:157], s[14:15]
	v_fma_f64 v[78:79], v[88:89], s[38:39], v[150:151]
	v_fma_f64 v[150:151], v[88:89], s[2:3], v[162:163]
	v_mul_f64 v[160:161], v[56:57], s[6:7]
	v_fma_f64 v[162:163], v[88:89], s[16:17], v[162:163]
	v_add_f64 v[94:95], v[168:169], v[94:95]
	v_add_f64 v[76:77], v[76:77], v[80:81]
	;; [unrolled: 1-line block ×3, first 2 shown]
	v_fma_f64 v[84:85], v[154:155], s[6:7], v[158:159]
	v_fma_f64 v[152:153], v[154:155], s[4:5], -v[152:153]
	v_add_f64 v[78:79], v[78:79], v[82:83]
	v_add_f64 v[82:83], v[150:151], v[86:87]
	v_mul_f64 v[56:57], v[56:57], s[28:29]
	v_fma_f64 v[150:151], v[154:155], s[6:7], -v[158:159]
	v_fma_f64 v[86:87], v[88:89], s[20:21], v[160:161]
	v_add_f64 v[98:99], v[162:163], v[140:141]
	v_add_f64 v[84:85], v[84:85], v[90:91]
	v_add_f64 v[90:91], v[148:149], -v[64:65]
	v_mul_f64 v[140:141], v[156:157], s[26:27]
	v_add_f64 v[94:95], v[152:153], v[94:95]
	v_fma_f64 v[152:153], v[88:89], s[14:15], v[160:161]
	v_add_f64 v[64:65], v[148:149], v[64:65]
	v_fma_f64 v[148:149], v[88:89], s[30:31], v[56:57]
	v_add_f64 v[144:145], v[150:151], v[144:145]
	v_add_f64 v[150:151], v[142:143], v[68:69]
	v_add_f64 v[68:69], v[142:143], -v[68:69]
	v_mul_f64 v[142:143], v[90:91], s[26:27]
	v_add_f64 v[86:87], v[86:87], v[96:97]
	v_fma_f64 v[96:97], v[154:155], s[28:29], v[140:141]
	v_add_f64 v[146:147], v[152:153], v[146:147]
	v_mul_f64 v[152:153], v[64:65], s[28:29]
	v_add_f64 v[72:73], v[148:149], v[72:73]
	v_fma_f64 v[56:57], v[88:89], s[26:27], v[56:57]
	v_mul_f64 v[88:89], v[90:91], s[24:25]
	v_fma_f64 v[148:149], v[150:151], s[28:29], v[142:143]
	v_fma_f64 v[142:143], v[150:151], s[28:29], -v[142:143]
	v_add_f64 v[62:63], v[96:97], v[62:63]
	v_fma_f64 v[96:97], v[154:155], s[28:29], -v[140:141]
	v_mul_f64 v[140:141], v[64:65], s[22:23]
	v_fma_f64 v[154:155], v[68:69], s[30:31], v[152:153]
	v_fma_f64 v[152:153], v[68:69], s[26:27], v[152:153]
	v_add_f64 v[54:55], v[56:57], v[54:55]
	v_add_f64 v[74:75], v[148:149], v[74:75]
	;; [unrolled: 1-line block ×3, first 2 shown]
	v_mul_f64 v[142:143], v[90:91], s[14:15]
	v_mul_f64 v[148:149], v[64:65], s[6:7]
	v_add_f64 v[52:53], v[96:97], v[52:53]
	v_fma_f64 v[56:57], v[150:151], s[22:23], v[88:89]
	v_fma_f64 v[96:97], v[68:69], s[18:19], v[140:141]
	;; [unrolled: 1-line block ×3, first 2 shown]
	v_add_f64 v[92:93], v[154:155], v[92:93]
	v_add_f64 v[60:61], v[152:153], v[60:61]
	v_fma_f64 v[88:89], v[150:151], s[22:23], -v[88:89]
	v_fma_f64 v[152:153], v[150:151], s[6:7], v[142:143]
	v_fma_f64 v[154:155], v[68:69], s[20:21], v[148:149]
	v_fma_f64 v[142:143], v[150:151], s[6:7], -v[142:143]
	v_fma_f64 v[148:149], v[68:69], s[14:15], v[148:149]
	v_add_f64 v[56:57], v[56:57], v[66:67]
	v_add_f64 v[66:67], v[96:97], v[70:71]
	v_mul_f64 v[70:71], v[90:91], s[34:35]
	v_mul_f64 v[96:97], v[64:65], s[36:37]
	v_add_f64 v[78:79], v[140:141], v[78:79]
	v_add_f64 v[140:141], v[46:47], v[50:51]
	;; [unrolled: 1-line block ×5, first 2 shown]
	v_add_f64 v[98:99], v[46:47], -v[50:51]
	v_mul_f64 v[46:47], v[90:91], s[16:17]
	v_fma_f64 v[156:157], v[150:151], s[36:37], v[70:71]
	v_fma_f64 v[158:159], v[68:69], s[38:39], v[96:97]
	v_mul_f64 v[50:51], v[64:65], s[4:5]
	v_fma_f64 v[64:65], v[150:151], s[36:37], -v[70:71]
	v_fma_f64 v[70:71], v[68:69], s[34:35], v[96:97]
	v_add_f64 v[96:97], v[44:45], -v[48:49]
	v_mul_f64 v[142:143], v[140:141], s[36:37]
	v_add_f64 v[90:91], v[44:45], v[48:49]
	v_mul_f64 v[48:49], v[98:99], s[34:35]
	v_fma_f64 v[44:45], v[150:151], s[4:5], v[46:47]
	v_fma_f64 v[148:149], v[68:69], s[2:3], v[50:51]
	v_fma_f64 v[46:47], v[150:151], s[4:5], -v[46:47]
	v_add_f64 v[146:147], v[70:71], v[146:147]
	v_fma_f64 v[50:51], v[68:69], s[16:17], v[50:51]
	v_fma_f64 v[68:69], v[96:97], s[38:39], v[142:143]
	v_mul_f64 v[70:71], v[140:141], s[6:7]
	v_add_f64 v[144:145], v[64:65], v[144:145]
	v_fma_f64 v[64:65], v[90:91], s[36:37], v[48:49]
	v_add_f64 v[150:151], v[44:45], v[62:63]
	v_mul_f64 v[62:63], v[98:99], s[20:21]
	v_add_f64 v[80:81], v[152:153], v[80:81]
	v_add_f64 v[82:83], v[154:155], v[82:83]
	;; [unrolled: 1-line block ×5, first 2 shown]
	v_fma_f64 v[48:49], v[90:91], s[36:37], -v[48:49]
	v_fma_f64 v[54:55], v[96:97], s[14:15], v[70:71]
	v_mul_f64 v[68:69], v[140:141], s[28:29]
	v_fma_f64 v[70:71], v[96:97], s[20:21], v[70:71]
	v_add_f64 v[44:45], v[64:65], v[74:75]
	v_fma_f64 v[50:51], v[96:97], s[34:35], v[142:143]
	v_fma_f64 v[52:53], v[90:91], s[6:7], v[62:63]
	v_mul_f64 v[64:65], v[98:99], s[26:27]
	v_fma_f64 v[62:63], v[90:91], s[6:7], -v[62:63]
	v_add_f64 v[148:149], v[148:149], v[72:73]
	v_add_f64 v[48:49], v[48:49], v[58:59]
	;; [unrolled: 1-line block ×3, first 2 shown]
	v_fma_f64 v[66:67], v[96:97], s[30:31], v[68:69]
	v_add_f64 v[58:59], v[70:71], v[78:79]
	v_fma_f64 v[68:69], v[96:97], s[26:27], v[68:69]
	v_mul_f64 v[70:71], v[98:99], s[16:17]
	v_mul_f64 v[72:73], v[140:141], s[4:5]
	v_add_f64 v[50:51], v[50:51], v[60:61]
	v_add_f64 v[52:53], v[52:53], v[56:57]
	v_fma_f64 v[60:61], v[90:91], s[28:29], v[64:65]
	v_add_f64 v[56:57], v[62:63], v[76:77]
	v_fma_f64 v[64:65], v[90:91], s[28:29], -v[64:65]
	v_mul_f64 v[74:75], v[98:99], s[18:19]
	v_mul_f64 v[76:77], v[140:141], s[22:23]
	v_add_f64 v[84:85], v[156:157], v[84:85]
	v_add_f64 v[86:87], v[158:159], v[86:87]
	;; [unrolled: 1-line block ×4, first 2 shown]
	v_fma_f64 v[68:69], v[90:91], s[4:5], v[70:71]
	v_fma_f64 v[78:79], v[96:97], s[2:3], v[72:73]
	v_add_f64 v[64:65], v[64:65], v[88:89]
	v_fma_f64 v[88:89], v[90:91], s[22:23], v[74:75]
	v_fma_f64 v[92:93], v[96:97], s[24:25], v[76:77]
	v_add_f64 v[60:61], v[60:61], v[80:81]
	v_fma_f64 v[80:81], v[90:91], s[4:5], -v[70:71]
	v_fma_f64 v[82:83], v[96:97], s[16:17], v[72:73]
	v_fma_f64 v[90:91], v[90:91], s[22:23], -v[74:75]
	v_fma_f64 v[94:95], v[96:97], s[18:19], v[76:77]
	v_add_f64 v[68:69], v[68:69], v[84:85]
	v_add_f64 v[70:71], v[78:79], v[86:87]
	v_add_f64 v[76:77], v[88:89], v[150:151]
	v_add_f64 v[78:79], v[92:93], v[148:149]
	v_add_f64 v[72:73], v[80:81], v[144:145]
	v_add_f64 v[74:75], v[82:83], v[146:147]
	v_add_f64 v[80:81], v[90:91], v[152:153]
	v_add_f64 v[82:83], v[94:95], v[154:155]
	s_barrier
	ds_write_b128 v206, v[40:43]
	ds_write_b128 v206, v[44:47] offset:256
	ds_write_b128 v206, v[52:55] offset:512
	;; [unrolled: 1-line block ×10, first 2 shown]
	s_waitcnt lgkmcnt(0)
	s_barrier
	ds_read_b128 v[40:43], v185 offset:2816
	ds_read_b128 v[44:47], v185 offset:5632
	;; [unrolled: 1-line block ×3, first 2 shown]
	s_waitcnt lgkmcnt(2)
	v_mul_f64 v[52:53], v[126:127], v[42:43]
	v_mul_f64 v[54:55], v[126:127], v[40:41]
	s_waitcnt lgkmcnt(1)
	v_mul_f64 v[56:57], v[122:123], v[46:47]
	v_mul_f64 v[58:59], v[122:123], v[44:45]
	v_fma_f64 v[64:65], v[124:125], v[40:41], v[52:53]
	v_fma_f64 v[66:67], v[124:125], v[42:43], -v[54:55]
	ds_read_b128 v[52:55], v185
	v_fma_f64 v[68:69], v[120:121], v[44:45], v[56:57]
	v_fma_f64 v[70:71], v[120:121], v[46:47], -v[58:59]
	s_waitcnt lgkmcnt(1)
	v_mul_f64 v[56:57], v[106:107], v[50:51]
	v_mul_f64 v[58:59], v[106:107], v[48:49]
	ds_read_b128 v[40:43], v185 offset:11264
	ds_read_b128 v[44:47], v185 offset:14080
	s_waitcnt lgkmcnt(2)
	v_add_f64 v[60:61], v[52:53], v[64:65]
	v_add_f64 v[62:63], v[54:55], v[66:67]
	s_waitcnt lgkmcnt(1)
	v_mul_f64 v[72:73], v[102:103], v[42:43]
	v_fma_f64 v[74:75], v[104:105], v[48:49], v[56:57]
	v_fma_f64 v[76:77], v[104:105], v[50:51], -v[58:59]
	v_mul_f64 v[48:49], v[102:103], v[40:41]
	s_waitcnt lgkmcnt(0)
	v_mul_f64 v[58:59], v[130:131], v[46:47]
	v_add_f64 v[50:51], v[60:61], v[68:69]
	v_add_f64 v[56:57], v[62:63], v[70:71]
	v_mul_f64 v[60:61], v[130:131], v[44:45]
	v_fma_f64 v[72:73], v[100:101], v[40:41], v[72:73]
	v_fma_f64 v[78:79], v[100:101], v[42:43], -v[48:49]
	v_fma_f64 v[80:81], v[128:129], v[44:45], v[58:59]
	v_add_f64 v[62:63], v[50:51], v[74:75]
	v_add_f64 v[56:57], v[56:57], v[76:77]
	ds_read_b128 v[40:43], v185 offset:16896
	ds_read_b128 v[48:51], v185 offset:19712
	v_fma_f64 v[82:83], v[128:129], v[46:47], -v[60:61]
	s_waitcnt lgkmcnt(1)
	v_mul_f64 v[84:85], v[118:119], v[42:43]
	v_mul_f64 v[86:87], v[118:119], v[40:41]
	v_add_f64 v[88:89], v[62:63], v[72:73]
	v_add_f64 v[90:91], v[56:57], v[78:79]
	ds_read_b128 v[44:47], v185 offset:22528
	ds_read_b128 v[56:59], v185 offset:25344
	;; [unrolled: 1-line block ×3, first 2 shown]
	s_waitcnt lgkmcnt(3)
	v_mul_f64 v[92:93], v[114:115], v[50:51]
	v_mul_f64 v[94:95], v[114:115], v[48:49]
	v_fma_f64 v[84:85], v[116:117], v[40:41], v[84:85]
	v_fma_f64 v[86:87], v[116:117], v[42:43], -v[86:87]
	v_add_f64 v[40:41], v[88:89], v[80:81]
	v_add_f64 v[42:43], v[90:91], v[82:83]
	s_waitcnt lgkmcnt(2)
	v_mul_f64 v[88:89], v[110:111], v[46:47]
	s_waitcnt lgkmcnt(0)
	v_mul_f64 v[90:91], v[134:135], v[60:61]
	v_fma_f64 v[48:49], v[112:113], v[48:49], v[92:93]
	v_fma_f64 v[50:51], v[112:113], v[50:51], -v[94:95]
	v_mul_f64 v[92:93], v[110:111], v[44:45]
	v_mul_f64 v[94:95], v[134:135], v[62:63]
	v_add_f64 v[40:41], v[40:41], v[84:85]
	v_add_f64 v[42:43], v[42:43], v[86:87]
	v_fma_f64 v[88:89], v[108:109], v[44:45], v[88:89]
	v_mul_f64 v[44:45], v[138:139], v[58:59]
	v_fma_f64 v[62:63], v[132:133], v[62:63], -v[90:91]
	v_mul_f64 v[96:97], v[138:139], v[56:57]
	v_fma_f64 v[46:47], v[108:109], v[46:47], -v[92:93]
	v_add_f64 v[40:41], v[40:41], v[48:49]
	v_add_f64 v[42:43], v[42:43], v[50:51]
	v_fma_f64 v[56:57], v[136:137], v[56:57], v[44:45]
	v_fma_f64 v[44:45], v[132:133], v[60:61], v[94:95]
	v_add_f64 v[60:61], v[66:67], -v[62:63]
	v_add_f64 v[66:67], v[66:67], v[62:63]
	v_fma_f64 v[58:59], v[136:137], v[58:59], -v[96:97]
	v_add_f64 v[40:41], v[40:41], v[88:89]
	v_add_f64 v[42:43], v[42:43], v[46:47]
	;; [unrolled: 1-line block ×4, first 2 shown]
	v_add_f64 v[64:65], v[64:65], -v[44:45]
	v_mul_f64 v[92:93], v[60:61], s[14:15]
	v_mul_f64 v[94:95], v[66:67], s[6:7]
	v_add_f64 v[96:97], v[40:41], v[56:57]
	v_add_f64 v[98:99], v[42:43], v[58:59]
	v_mul_f64 v[114:115], v[60:61], s[26:27]
	v_mul_f64 v[116:117], v[66:67], s[28:29]
	v_mul_f64 v[100:101], v[60:61], s[2:3]
	v_mul_f64 v[102:103], v[66:67], s[4:5]
	v_fma_f64 v[104:105], v[90:91], s[6:7], v[92:93]
	v_fma_f64 v[106:107], v[64:65], s[20:21], v[94:95]
	v_add_f64 v[42:43], v[96:97], v[44:45]
	v_add_f64 v[44:45], v[98:99], v[62:63]
	v_mul_f64 v[108:109], v[66:67], s[22:23]
	v_fma_f64 v[118:119], v[90:91], s[28:29], v[114:115]
	v_fma_f64 v[120:121], v[64:65], s[30:31], v[116:117]
	v_fma_f64 v[114:115], v[90:91], s[28:29], -v[114:115]
	v_add_f64 v[98:99], v[52:53], v[104:105]
	v_add_f64 v[104:105], v[54:55], v[106:107]
	v_mul_f64 v[106:107], v[60:61], s[18:19]
	v_fma_f64 v[116:117], v[64:65], s[26:27], v[116:117]
	v_mul_f64 v[60:61], v[60:61], s[34:35]
	v_mul_f64 v[66:67], v[66:67], s[36:37]
	v_add_f64 v[122:123], v[70:71], -v[58:59]
	v_add_f64 v[58:59], v[70:71], v[58:59]
	v_add_f64 v[70:71], v[52:53], v[114:115]
	v_add_f64 v[56:57], v[68:69], -v[56:57]
	v_fma_f64 v[62:63], v[90:91], s[6:7], -v[92:93]
	v_add_f64 v[114:115], v[54:55], v[116:117]
	v_fma_f64 v[116:117], v[90:91], s[36:37], v[60:61]
	v_fma_f64 v[124:125], v[64:65], s[38:39], v[66:67]
	;; [unrolled: 1-line block ×3, first 2 shown]
	v_mul_f64 v[128:129], v[58:59], s[4:5]
	v_fma_f64 v[94:95], v[90:91], s[4:5], v[100:101]
	v_fma_f64 v[96:97], v[64:65], s[16:17], v[102:103]
	v_fma_f64 v[100:101], v[90:91], s[4:5], -v[100:101]
	v_fma_f64 v[102:103], v[64:65], s[2:3], v[102:103]
	v_fma_f64 v[110:111], v[90:91], s[22:23], v[106:107]
	v_fma_f64 v[112:113], v[64:65], s[24:25], v[108:109]
	v_fma_f64 v[106:107], v[90:91], s[22:23], -v[106:107]
	v_fma_f64 v[108:109], v[64:65], s[18:19], v[108:109]
	v_mul_f64 v[68:69], v[122:123], s[2:3]
	v_fma_f64 v[60:61], v[90:91], s[36:37], -v[60:61]
	v_fma_f64 v[64:65], v[64:65], s[34:35], v[66:67]
	v_add_f64 v[66:67], v[52:53], v[116:117]
	v_add_f64 v[90:91], v[54:55], v[124:125]
	v_mul_f64 v[116:117], v[122:123], s[26:27]
	v_mul_f64 v[124:125], v[58:59], s[28:29]
	v_fma_f64 v[132:133], v[56:57], s[16:17], v[128:129]
	v_add_f64 v[62:63], v[52:53], v[62:63]
	v_add_f64 v[92:93], v[54:55], v[92:93]
	;; [unrolled: 1-line block ×12, first 2 shown]
	v_fma_f64 v[130:131], v[126:127], s[4:5], v[68:69]
	v_add_f64 v[52:53], v[52:53], v[60:61]
	v_add_f64 v[54:55], v[54:55], v[64:65]
	v_fma_f64 v[60:61], v[126:127], s[4:5], -v[68:69]
	v_fma_f64 v[64:65], v[56:57], s[2:3], v[128:129]
	v_fma_f64 v[68:69], v[126:127], s[28:29], v[116:117]
	;; [unrolled: 1-line block ×3, first 2 shown]
	v_add_f64 v[104:105], v[132:133], v[104:105]
	v_mul_f64 v[132:133], v[58:59], s[36:37]
	v_add_f64 v[98:99], v[130:131], v[98:99]
	v_mul_f64 v[130:131], v[122:123], s[38:39]
	v_add_f64 v[60:61], v[60:61], v[62:63]
	v_add_f64 v[62:63], v[64:65], v[92:93]
	;; [unrolled: 1-line block ×4, first 2 shown]
	v_fma_f64 v[92:93], v[126:127], s[28:29], -v[116:117]
	v_fma_f64 v[94:95], v[56:57], s[26:27], v[124:125]
	v_fma_f64 v[116:117], v[56:57], s[34:35], v[132:133]
	v_mul_f64 v[124:125], v[122:123], s[24:25]
	v_mul_f64 v[128:129], v[58:59], s[22:23]
	v_fma_f64 v[96:97], v[126:127], s[36:37], v[130:131]
	v_mul_f64 v[122:123], v[122:123], s[20:21]
	v_mul_f64 v[58:59], v[58:59], s[6:7]
	v_add_f64 v[92:93], v[92:93], v[100:101]
	v_add_f64 v[94:95], v[94:95], v[102:103]
	;; [unrolled: 1-line block ×3, first 2 shown]
	v_fma_f64 v[102:103], v[126:127], s[22:23], v[124:125]
	v_fma_f64 v[112:113], v[126:127], s[22:23], -v[124:125]
	v_fma_f64 v[116:117], v[56:57], s[24:25], v[128:129]
	v_add_f64 v[96:97], v[96:97], v[110:111]
	v_fma_f64 v[110:111], v[56:57], s[18:19], v[128:129]
	v_fma_f64 v[132:133], v[56:57], s[38:39], v[132:133]
	v_fma_f64 v[130:131], v[126:127], s[36:37], -v[130:131]
	v_mad_u64_u32 v[40:41], s[40:41], s10, v184, 0
	v_add_f64 v[102:103], v[102:103], v[118:119]
	v_add_f64 v[118:119], v[76:77], -v[46:47]
	v_add_f64 v[46:47], v[76:77], v[46:47]
	v_add_f64 v[70:71], v[112:113], v[70:71]
	;; [unrolled: 1-line block ×3, first 2 shown]
	v_fma_f64 v[112:113], v[126:127], s[6:7], v[122:123]
	v_fma_f64 v[114:115], v[56:57], s[14:15], v[58:59]
	v_add_f64 v[110:111], v[110:111], v[120:121]
	v_add_f64 v[116:117], v[74:75], v[88:89]
	v_add_f64 v[74:75], v[74:75], -v[88:89]
	v_mul_f64 v[88:89], v[118:119], s[18:19]
	v_mul_f64 v[120:121], v[46:47], s[22:23]
	v_fma_f64 v[56:57], v[56:57], s[20:21], v[58:59]
	v_add_f64 v[58:59], v[112:113], v[66:67]
	v_add_f64 v[66:67], v[114:115], v[90:91]
	v_mul_f64 v[90:91], v[118:119], s[38:39]
	v_fma_f64 v[122:123], v[126:127], s[6:7], -v[122:123]
	v_mul_f64 v[112:113], v[46:47], s[36:37]
	v_fma_f64 v[114:115], v[116:117], s[22:23], v[88:89]
	v_fma_f64 v[124:125], v[74:75], s[24:25], v[120:121]
	v_add_f64 v[54:55], v[56:57], v[54:55]
	v_fma_f64 v[56:57], v[116:117], s[22:23], -v[88:89]
	v_fma_f64 v[88:89], v[74:75], s[18:19], v[120:121]
	v_fma_f64 v[120:121], v[116:117], s[36:37], v[90:91]
	v_add_f64 v[52:53], v[122:123], v[52:53]
	v_fma_f64 v[122:123], v[74:75], s[34:35], v[112:113]
	v_add_f64 v[98:99], v[114:115], v[98:99]
	v_add_f64 v[104:105], v[124:125], v[104:105]
	v_mul_f64 v[114:115], v[118:119], s[16:17]
	v_mul_f64 v[124:125], v[46:47], s[4:5]
	v_add_f64 v[56:57], v[56:57], v[60:61]
	v_add_f64 v[60:61], v[88:89], v[62:63]
	;; [unrolled: 1-line block ×3, first 2 shown]
	v_fma_f64 v[88:89], v[74:75], s[38:39], v[112:113]
	v_mul_f64 v[120:121], v[118:119], s[14:15]
	v_add_f64 v[64:65], v[122:123], v[68:69]
	v_fma_f64 v[68:69], v[116:117], s[36:37], -v[90:91]
	v_fma_f64 v[90:91], v[116:117], s[4:5], v[114:115]
	v_fma_f64 v[112:113], v[74:75], s[2:3], v[124:125]
	v_mul_f64 v[122:123], v[46:47], s[6:7]
	v_add_f64 v[106:107], v[130:131], v[106:107]
	v_add_f64 v[88:89], v[88:89], v[94:95]
	v_fma_f64 v[94:95], v[116:117], s[6:7], v[120:121]
	v_add_f64 v[108:109], v[132:133], v[108:109]
	v_fma_f64 v[114:115], v[116:117], s[4:5], -v[114:115]
	v_fma_f64 v[124:125], v[74:75], s[16:17], v[124:125]
	v_add_f64 v[68:69], v[68:69], v[92:93]
	v_add_f64 v[90:91], v[90:91], v[96:97]
	;; [unrolled: 1-line block ×3, first 2 shown]
	v_fma_f64 v[96:97], v[74:75], s[20:21], v[122:123]
	v_mul_f64 v[46:47], v[46:47], s[28:29]
	v_fma_f64 v[112:113], v[116:117], s[6:7], -v[120:121]
	v_add_f64 v[94:95], v[94:95], v[102:103]
	v_add_f64 v[102:103], v[78:79], -v[50:51]
	v_add_f64 v[100:101], v[114:115], v[106:107]
	v_add_f64 v[106:107], v[124:125], v[108:109]
	v_mul_f64 v[108:109], v[118:119], s[26:27]
	v_fma_f64 v[114:115], v[74:75], s[14:15], v[122:123]
	v_add_f64 v[96:97], v[96:97], v[110:111]
	v_add_f64 v[50:51], v[78:79], v[50:51]
	v_fma_f64 v[110:111], v[74:75], s[30:31], v[46:47]
	v_add_f64 v[70:71], v[112:113], v[70:71]
	v_add_f64 v[112:113], v[72:73], v[48:49]
	v_add_f64 v[48:49], v[72:73], -v[48:49]
	v_mul_f64 v[72:73], v[102:103], s[26:27]
	v_fma_f64 v[78:79], v[116:117], s[28:29], v[108:109]
	v_add_f64 v[76:77], v[114:115], v[76:77]
	v_mul_f64 v[114:115], v[50:51], s[28:29]
	v_add_f64 v[66:67], v[110:111], v[66:67]
	v_fma_f64 v[46:47], v[74:75], s[26:27], v[46:47]
	v_mul_f64 v[74:75], v[102:103], s[24:25]
	v_fma_f64 v[110:111], v[112:113], s[28:29], v[72:73]
	v_fma_f64 v[72:73], v[112:113], s[28:29], -v[72:73]
	v_add_f64 v[58:59], v[78:79], v[58:59]
	v_fma_f64 v[78:79], v[116:117], s[28:29], -v[108:109]
	v_mul_f64 v[108:109], v[50:51], s[22:23]
	v_fma_f64 v[116:117], v[48:49], s[30:31], v[114:115]
	v_fma_f64 v[114:115], v[48:49], s[26:27], v[114:115]
	v_add_f64 v[46:47], v[46:47], v[54:55]
	v_fma_f64 v[54:55], v[112:113], s[22:23], v[74:75]
	v_add_f64 v[56:57], v[72:73], v[56:57]
	v_mul_f64 v[72:73], v[102:103], s[14:15]
	v_add_f64 v[52:53], v[78:79], v[52:53]
	v_fma_f64 v[78:79], v[48:49], s[18:19], v[108:109]
	v_add_f64 v[98:99], v[110:111], v[98:99]
	v_add_f64 v[60:61], v[114:115], v[60:61]
	v_mul_f64 v[110:111], v[50:51], s[6:7]
	v_add_f64 v[104:105], v[116:117], v[104:105]
	v_add_f64 v[54:55], v[54:55], v[62:63]
	v_fma_f64 v[114:115], v[112:113], s[6:7], v[72:73]
	v_fma_f64 v[72:73], v[112:113], s[6:7], -v[72:73]
	v_add_f64 v[62:63], v[78:79], v[64:65]
	v_mul_f64 v[64:65], v[102:103], s[34:35]
	v_mul_f64 v[78:79], v[50:51], s[36:37]
	v_fma_f64 v[74:75], v[112:113], s[22:23], -v[74:75]
	v_fma_f64 v[108:109], v[48:49], s[24:25], v[108:109]
	v_fma_f64 v[116:117], v[48:49], s[20:21], v[110:111]
	;; [unrolled: 1-line block ×3, first 2 shown]
	v_add_f64 v[72:73], v[72:73], v[100:101]
	v_add_f64 v[100:101], v[82:83], -v[86:87]
	v_add_f64 v[82:83], v[82:83], v[86:87]
	v_mul_f64 v[50:51], v[50:51], s[4:5]
	v_mul_f64 v[86:87], v[102:103], s[16:17]
	v_fma_f64 v[118:119], v[112:113], s[36:37], v[64:65]
	v_add_f64 v[68:69], v[74:75], v[68:69]
	v_add_f64 v[74:75], v[108:109], v[88:89]
	;; [unrolled: 1-line block ×5, first 2 shown]
	v_fma_f64 v[64:65], v[112:113], s[36:37], -v[64:65]
	v_add_f64 v[102:103], v[80:81], v[84:85]
	v_add_f64 v[80:81], v[80:81], -v[84:85]
	v_mul_f64 v[84:85], v[100:101], s[34:35]
	v_mul_f64 v[106:107], v[82:83], s[36:37]
	v_fma_f64 v[110:111], v[48:49], s[2:3], v[50:51]
	v_fma_f64 v[120:121], v[48:49], s[38:39], v[78:79]
	;; [unrolled: 1-line block ×4, first 2 shown]
	v_add_f64 v[114:115], v[64:65], v[70:71]
	v_fma_f64 v[64:65], v[112:113], s[4:5], -v[86:87]
	v_fma_f64 v[48:49], v[48:49], s[16:17], v[50:51]
	v_fma_f64 v[50:51], v[102:103], s[36:37], v[84:85]
	;; [unrolled: 1-line block ×3, first 2 shown]
	v_add_f64 v[86:87], v[110:111], v[66:67]
	v_mul_f64 v[66:67], v[82:83], s[6:7]
	v_add_f64 v[76:77], v[78:79], v[76:77]
	v_add_f64 v[78:79], v[108:109], v[58:59]
	v_mul_f64 v[58:59], v[100:101], s[20:21]
	v_add_f64 v[108:109], v[64:65], v[52:53]
	v_add_f64 v[110:111], v[48:49], v[46:47]
	;; [unrolled: 1-line block ×4, first 2 shown]
	v_fma_f64 v[50:51], v[102:103], s[36:37], -v[84:85]
	v_fma_f64 v[52:53], v[80:81], s[34:35], v[106:107]
	v_fma_f64 v[70:71], v[80:81], s[14:15], v[66:67]
	v_mul_f64 v[84:85], v[100:101], s[26:27]
	v_fma_f64 v[66:67], v[80:81], s[20:21], v[66:67]
	v_fma_f64 v[64:65], v[102:103], s[6:7], v[58:59]
	v_fma_f64 v[58:59], v[102:103], s[6:7], -v[58:59]
	v_mul_f64 v[98:99], v[82:83], s[28:29]
	v_add_f64 v[50:51], v[50:51], v[56:57]
	v_add_f64 v[52:53], v[52:53], v[60:61]
	v_add_f64 v[56:57], v[70:71], v[62:63]
	v_fma_f64 v[62:63], v[102:103], s[28:29], v[84:85]
	v_add_f64 v[60:61], v[66:67], v[74:75]
	v_fma_f64 v[66:67], v[102:103], s[28:29], -v[84:85]
	v_mul_f64 v[70:71], v[100:101], s[16:17]
	v_mul_f64 v[74:75], v[82:83], s[4:5]
	v_add_f64 v[58:59], v[58:59], v[68:69]
	v_fma_f64 v[68:69], v[80:81], s[26:27], v[98:99]
	v_mul_f64 v[84:85], v[100:101], s[18:19]
	v_mul_f64 v[82:83], v[82:83], s[22:23]
	v_add_f64 v[54:55], v[64:65], v[54:55]
	v_fma_f64 v[64:65], v[80:81], s[30:31], v[98:99]
	v_add_f64 v[94:95], v[118:119], v[94:95]
	v_add_f64 v[96:97], v[120:121], v[96:97]
	;; [unrolled: 1-line block ×4, first 2 shown]
	v_fma_f64 v[72:73], v[102:103], s[4:5], v[70:71]
	v_fma_f64 v[88:89], v[80:81], s[2:3], v[74:75]
	v_add_f64 v[68:69], v[68:69], v[92:93]
	v_fma_f64 v[92:93], v[102:103], s[22:23], v[84:85]
	v_fma_f64 v[98:99], v[80:81], s[24:25], v[82:83]
	v_fma_f64 v[84:85], v[102:103], s[22:23], -v[84:85]
	v_fma_f64 v[100:101], v[80:81], s[18:19], v[82:83]
	v_add_f64 v[64:65], v[64:65], v[90:91]
	v_fma_f64 v[90:91], v[102:103], s[4:5], -v[70:71]
	v_fma_f64 v[102:103], v[80:81], s[16:17], v[74:75]
	v_add_f64 v[70:71], v[72:73], v[94:95]
	v_add_f64 v[72:73], v[88:89], v[96:97]
	;; [unrolled: 1-line block ×8, first 2 shown]
	ds_write_b128 v185, v[42:45]
	ds_write_b128 v185, v[46:49] offset:2816
	ds_write_b128 v185, v[54:57] offset:5632
	ds_write_b128 v185, v[62:65] offset:8448
	ds_write_b128 v185, v[70:73] offset:11264
	ds_write_b128 v185, v[78:81] offset:14080
	ds_write_b128 v185, v[82:85] offset:16896
	ds_write_b128 v185, v[74:77] offset:19712
	ds_write_b128 v185, v[66:69] offset:22528
	ds_write_b128 v185, v[58:61] offset:25344
	ds_write_b128 v185, v[50:53] offset:28160
	s_waitcnt lgkmcnt(0)
	s_barrier
	ds_read_b128 v[42:45], v185
	ds_read_b128 v[46:49], v185 offset:2816
	v_mad_u64_u32 v[54:55], s[2:3], s8, v188, 0
	v_mov_b32_e32 v58, s13
	s_waitcnt lgkmcnt(1)
	v_mul_f64 v[50:51], v[38:39], v[44:45]
	v_mul_f64 v[38:39], v[38:39], v[42:43]
	v_mad_u64_u32 v[52:53], s[2:3], s11, v184, v[41:42]
	s_mov_b32 s2, 0x6be69c90
	s_mov_b32 s3, 0x3f40ecf5
	v_mov_b32_e32 v41, v52
	v_lshlrev_b64 v[40:41], 4, v[40:41]
	v_fma_f64 v[42:43], v[36:37], v[42:43], v[50:51]
	v_fma_f64 v[44:45], v[36:37], v[44:45], -v[38:39]
	v_mov_b32_e32 v36, v55
	v_mad_u64_u32 v[50:51], s[4:5], s9, v188, v[36:37]
	ds_read_b128 v[36:39], v185 offset:15488
	v_add_co_u32_e32 v59, vcc, s12, v40
	v_mov_b32_e32 v55, v50
	ds_read_b128 v[50:53], v185 offset:11264
	s_waitcnt lgkmcnt(1)
	v_mul_f64 v[56:57], v[2:3], v[38:39]
	v_mul_f64 v[2:3], v[2:3], v[36:37]
	;; [unrolled: 1-line block ×4, first 2 shown]
	v_addc_co_u32_e32 v58, vcc, v58, v41, vcc
	v_lshlrev_b64 v[40:41], 4, v[54:55]
	s_mul_i32 s4, s9, 0x3c8
	v_fma_f64 v[36:37], v[0:1], v[36:37], v[56:57]
	v_fma_f64 v[2:3], v[0:1], v[38:39], -v[2:3]
	v_add_co_u32_e32 v38, vcc, v59, v40
	v_addc_co_u32_e32 v39, vcc, v58, v41, vcc
	s_mul_hi_u32 s5, s8, 0x3c8
	s_add_i32 s5, s5, s4
	v_mul_f64 v[0:1], v[36:37], s[2:3]
	v_mul_f64 v[36:37], v[6:7], v[48:49]
	;; [unrolled: 1-line block ×4, first 2 shown]
	s_mul_i32 s4, s8, 0x3c8
	s_lshl_b64 s[4:5], s[4:5], 4
	global_store_dwordx4 v[38:39], v[42:45], off
	v_mov_b32_e32 v54, s5
	v_add_co_u32_e32 v44, vcc, s4, v38
	v_fma_f64 v[36:37], v[4:5], v[46:47], v[36:37]
	v_fma_f64 v[40:41], v[4:5], v[48:49], -v[6:7]
	ds_read_b128 v[4:7], v185 offset:18304
	v_addc_co_u32_e32 v45, vcc, v39, v54, vcc
	global_store_dwordx4 v[44:45], v[0:3], off
	s_mul_hi_u32 s7, s8, 0xfffffce8
	s_mul_i32 s6, s9, 0xfffffce8
	v_mul_f64 v[0:1], v[36:37], s[2:3]
	ds_read_b128 v[36:39], v185 offset:21120
	s_waitcnt lgkmcnt(1)
	v_mul_f64 v[46:47], v[10:11], v[6:7]
	v_mul_f64 v[10:11], v[10:11], v[4:5]
	;; [unrolled: 1-line block ×3, first 2 shown]
	ds_read_b128 v[40:43], v185 offset:5632
	s_sub_i32 s7, s7, s8
	s_add_i32 s7, s7, s6
	s_mul_i32 s6, s8, 0xfffffce8
	s_lshl_b64 s[6:7], s[6:7], 4
	v_fma_f64 v[46:47], v[8:9], v[4:5], v[46:47]
	v_fma_f64 v[8:9], v[8:9], v[6:7], -v[10:11]
	ds_read_b128 v[4:7], v185 offset:8448
	s_waitcnt lgkmcnt(1)
	v_mul_f64 v[10:11], v[14:15], v[42:43]
	v_mul_f64 v[14:15], v[14:15], v[40:41]
	v_mov_b32_e32 v48, s7
	v_add_co_u32_e32 v44, vcc, s6, v44
	v_addc_co_u32_e32 v45, vcc, v45, v48, vcc
	global_store_dwordx4 v[44:45], v[0:3], off
	s_nop 0
	v_mul_f64 v[0:1], v[46:47], s[2:3]
	v_mul_f64 v[2:3], v[8:9], s[2:3]
	v_fma_f64 v[8:9], v[12:13], v[40:41], v[10:11]
	v_fma_f64 v[10:11], v[12:13], v[42:43], -v[14:15]
	v_mul_f64 v[12:13], v[30:31], v[38:39]
	v_mul_f64 v[14:15], v[30:31], v[36:37]
	v_add_co_u32_e32 v30, vcc, s4, v44
	v_addc_co_u32_e32 v31, vcc, v45, v54, vcc
	global_store_dwordx4 v[30:31], v[0:3], off
	v_add_co_u32_e32 v30, vcc, s6, v30
	v_mul_f64 v[0:1], v[8:9], s[2:3]
	v_mul_f64 v[2:3], v[10:11], s[2:3]
	v_fma_f64 v[8:9], v[28:29], v[36:37], v[12:13]
	v_fma_f64 v[12:13], v[28:29], v[38:39], -v[14:15]
	s_waitcnt lgkmcnt(0)
	v_mul_f64 v[14:15], v[34:35], v[6:7]
	v_mul_f64 v[28:29], v[34:35], v[4:5]
	v_addc_co_u32_e32 v31, vcc, v31, v48, vcc
	global_store_dwordx4 v[30:31], v[0:3], off
	s_nop 0
	v_mul_f64 v[0:1], v[8:9], s[2:3]
	ds_read_b128 v[8:11], v185 offset:23936
	v_mul_f64 v[2:3], v[12:13], s[2:3]
	v_fma_f64 v[12:13], v[32:33], v[4:5], v[14:15]
	v_fma_f64 v[14:15], v[32:33], v[6:7], -v[28:29]
	ds_read_b128 v[4:7], v185 offset:26752
	s_waitcnt lgkmcnt(1)
	v_mul_f64 v[28:29], v[18:19], v[10:11]
	v_mul_f64 v[18:19], v[18:19], v[8:9]
	v_add_co_u32_e32 v30, vcc, s4, v30
	v_addc_co_u32_e32 v31, vcc, v31, v54, vcc
	global_store_dwordx4 v[30:31], v[0:3], off
	v_fma_f64 v[8:9], v[16:17], v[8:9], v[28:29]
	v_mul_f64 v[0:1], v[12:13], s[2:3]
	v_mul_f64 v[2:3], v[14:15], s[2:3]
	v_fma_f64 v[10:11], v[16:17], v[10:11], -v[18:19]
	v_mul_f64 v[12:13], v[22:23], v[52:53]
	v_mul_f64 v[14:15], v[22:23], v[50:51]
	s_waitcnt lgkmcnt(0)
	v_mul_f64 v[16:17], v[26:27], v[6:7]
	v_mul_f64 v[18:19], v[26:27], v[4:5]
	v_add_co_u32_e32 v22, vcc, s6, v30
	v_addc_co_u32_e32 v23, vcc, v31, v48, vcc
	global_store_dwordx4 v[22:23], v[0:3], off
	s_nop 0
	v_mul_f64 v[0:1], v[8:9], s[2:3]
	v_mul_f64 v[2:3], v[10:11], s[2:3]
	v_fma_f64 v[8:9], v[20:21], v[50:51], v[12:13]
	v_fma_f64 v[10:11], v[20:21], v[52:53], -v[14:15]
	v_fma_f64 v[12:13], v[24:25], v[4:5], v[16:17]
	v_fma_f64 v[14:15], v[24:25], v[6:7], -v[18:19]
	v_add_co_u32_e32 v16, vcc, s4, v22
	v_addc_co_u32_e32 v17, vcc, v23, v54, vcc
	v_mul_f64 v[4:5], v[8:9], s[2:3]
	v_mul_f64 v[6:7], v[10:11], s[2:3]
	;; [unrolled: 1-line block ×4, first 2 shown]
	global_store_dwordx4 v[16:17], v[0:3], off
	s_nop 0
	v_add_co_u32_e32 v0, vcc, s6, v16
	v_addc_co_u32_e32 v1, vcc, v17, v48, vcc
	global_store_dwordx4 v[0:1], v[4:7], off
	v_add_co_u32_e32 v0, vcc, s4, v0
	v_addc_co_u32_e32 v1, vcc, v1, v54, vcc
	global_store_dwordx4 v[0:1], v[8:11], off
	s_and_b64 exec, exec, s[0:1]
	s_cbranch_execz .LBB0_31
; %bb.30:
	v_add_co_u32_e32 v2, vcc, 0x3000, v186
	v_addc_co_u32_e32 v3, vcc, 0, v187, vcc
	s_movk_i32 s0, 0x7000
	v_add_co_u32_e32 v6, vcc, s0, v186
	global_load_dwordx4 v[2:5], v[2:3], off offset:1792
	v_addc_co_u32_e32 v7, vcc, 0, v187, vcc
	global_load_dwordx4 v[6:9], v[6:7], off offset:896
	ds_read_b128 v[10:13], v185 offset:14080
	ds_read_b128 v[14:17], v185 offset:29568
	v_add_co_u32_e32 v0, vcc, s6, v0
	s_waitcnt vmcnt(1) lgkmcnt(1)
	v_mul_f64 v[18:19], v[12:13], v[4:5]
	v_mul_f64 v[4:5], v[10:11], v[4:5]
	s_waitcnt vmcnt(0) lgkmcnt(0)
	v_mul_f64 v[20:21], v[16:17], v[8:9]
	v_mul_f64 v[8:9], v[14:15], v[8:9]
	v_fma_f64 v[10:11], v[10:11], v[2:3], v[18:19]
	v_fma_f64 v[4:5], v[2:3], v[12:13], -v[4:5]
	v_fma_f64 v[12:13], v[14:15], v[6:7], v[20:21]
	v_fma_f64 v[8:9], v[6:7], v[16:17], -v[8:9]
	v_mov_b32_e32 v14, s7
	v_addc_co_u32_e32 v1, vcc, v1, v14, vcc
	v_mul_f64 v[2:3], v[10:11], s[2:3]
	v_mul_f64 v[4:5], v[4:5], s[2:3]
	v_mov_b32_e32 v15, s5
	v_mul_f64 v[6:7], v[12:13], s[2:3]
	v_mul_f64 v[8:9], v[8:9], s[2:3]
	v_add_co_u32_e32 v10, vcc, s4, v0
	v_addc_co_u32_e32 v11, vcc, v1, v15, vcc
	global_store_dwordx4 v[0:1], v[2:5], off
	global_store_dwordx4 v[10:11], v[6:9], off
.LBB0_31:
	s_endpgm
	.section	.rodata,"a",@progbits
	.p2align	6, 0x0
	.amdhsa_kernel bluestein_single_fwd_len1936_dim1_dp_op_CI_CI
		.amdhsa_group_segment_fixed_size 30976
		.amdhsa_private_segment_fixed_size 0
		.amdhsa_kernarg_size 104
		.amdhsa_user_sgpr_count 6
		.amdhsa_user_sgpr_private_segment_buffer 1
		.amdhsa_user_sgpr_dispatch_ptr 0
		.amdhsa_user_sgpr_queue_ptr 0
		.amdhsa_user_sgpr_kernarg_segment_ptr 1
		.amdhsa_user_sgpr_dispatch_id 0
		.amdhsa_user_sgpr_flat_scratch_init 0
		.amdhsa_user_sgpr_private_segment_size 0
		.amdhsa_uses_dynamic_stack 0
		.amdhsa_system_sgpr_private_segment_wavefront_offset 0
		.amdhsa_system_sgpr_workgroup_id_x 1
		.amdhsa_system_sgpr_workgroup_id_y 0
		.amdhsa_system_sgpr_workgroup_id_z 0
		.amdhsa_system_sgpr_workgroup_info 0
		.amdhsa_system_vgpr_workitem_id 0
		.amdhsa_next_free_vgpr 249
		.amdhsa_next_free_sgpr 42
		.amdhsa_reserve_vcc 1
		.amdhsa_reserve_flat_scratch 0
		.amdhsa_float_round_mode_32 0
		.amdhsa_float_round_mode_16_64 0
		.amdhsa_float_denorm_mode_32 3
		.amdhsa_float_denorm_mode_16_64 3
		.amdhsa_dx10_clamp 1
		.amdhsa_ieee_mode 1
		.amdhsa_fp16_overflow 0
		.amdhsa_exception_fp_ieee_invalid_op 0
		.amdhsa_exception_fp_denorm_src 0
		.amdhsa_exception_fp_ieee_div_zero 0
		.amdhsa_exception_fp_ieee_overflow 0
		.amdhsa_exception_fp_ieee_underflow 0
		.amdhsa_exception_fp_ieee_inexact 0
		.amdhsa_exception_int_div_zero 0
	.end_amdhsa_kernel
	.text
.Lfunc_end0:
	.size	bluestein_single_fwd_len1936_dim1_dp_op_CI_CI, .Lfunc_end0-bluestein_single_fwd_len1936_dim1_dp_op_CI_CI
                                        ; -- End function
	.section	.AMDGPU.csdata,"",@progbits
; Kernel info:
; codeLenInByte = 19628
; NumSgprs: 46
; NumVgprs: 249
; ScratchSize: 0
; MemoryBound: 0
; FloatMode: 240
; IeeeMode: 1
; LDSByteSize: 30976 bytes/workgroup (compile time only)
; SGPRBlocks: 5
; VGPRBlocks: 62
; NumSGPRsForWavesPerEU: 46
; NumVGPRsForWavesPerEU: 249
; Occupancy: 1
; WaveLimiterHint : 1
; COMPUTE_PGM_RSRC2:SCRATCH_EN: 0
; COMPUTE_PGM_RSRC2:USER_SGPR: 6
; COMPUTE_PGM_RSRC2:TRAP_HANDLER: 0
; COMPUTE_PGM_RSRC2:TGID_X_EN: 1
; COMPUTE_PGM_RSRC2:TGID_Y_EN: 0
; COMPUTE_PGM_RSRC2:TGID_Z_EN: 0
; COMPUTE_PGM_RSRC2:TIDIG_COMP_CNT: 0
	.type	__hip_cuid_e1a5b7ad4641d17b,@object ; @__hip_cuid_e1a5b7ad4641d17b
	.section	.bss,"aw",@nobits
	.globl	__hip_cuid_e1a5b7ad4641d17b
__hip_cuid_e1a5b7ad4641d17b:
	.byte	0                               ; 0x0
	.size	__hip_cuid_e1a5b7ad4641d17b, 1

	.ident	"AMD clang version 19.0.0git (https://github.com/RadeonOpenCompute/llvm-project roc-6.4.0 25133 c7fe45cf4b819c5991fe208aaa96edf142730f1d)"
	.section	".note.GNU-stack","",@progbits
	.addrsig
	.addrsig_sym __hip_cuid_e1a5b7ad4641d17b
	.amdgpu_metadata
---
amdhsa.kernels:
  - .args:
      - .actual_access:  read_only
        .address_space:  global
        .offset:         0
        .size:           8
        .value_kind:     global_buffer
      - .actual_access:  read_only
        .address_space:  global
        .offset:         8
        .size:           8
        .value_kind:     global_buffer
      - .actual_access:  read_only
        .address_space:  global
        .offset:         16
        .size:           8
        .value_kind:     global_buffer
      - .actual_access:  read_only
        .address_space:  global
        .offset:         24
        .size:           8
        .value_kind:     global_buffer
      - .actual_access:  read_only
        .address_space:  global
        .offset:         32
        .size:           8
        .value_kind:     global_buffer
      - .offset:         40
        .size:           8
        .value_kind:     by_value
      - .address_space:  global
        .offset:         48
        .size:           8
        .value_kind:     global_buffer
      - .address_space:  global
        .offset:         56
        .size:           8
        .value_kind:     global_buffer
      - .address_space:  global
        .offset:         64
        .size:           8
        .value_kind:     global_buffer
      - .address_space:  global
        .offset:         72
        .size:           8
        .value_kind:     global_buffer
      - .offset:         80
        .size:           4
        .value_kind:     by_value
      - .address_space:  global
        .offset:         88
        .size:           8
        .value_kind:     global_buffer
      - .address_space:  global
        .offset:         96
        .size:           8
        .value_kind:     global_buffer
    .group_segment_fixed_size: 30976
    .kernarg_segment_align: 8
    .kernarg_segment_size: 104
    .language:       OpenCL C
    .language_version:
      - 2
      - 0
    .max_flat_workgroup_size: 176
    .name:           bluestein_single_fwd_len1936_dim1_dp_op_CI_CI
    .private_segment_fixed_size: 0
    .sgpr_count:     46
    .sgpr_spill_count: 0
    .symbol:         bluestein_single_fwd_len1936_dim1_dp_op_CI_CI.kd
    .uniform_work_group_size: 1
    .uses_dynamic_stack: false
    .vgpr_count:     249
    .vgpr_spill_count: 0
    .wavefront_size: 64
amdhsa.target:   amdgcn-amd-amdhsa--gfx906
amdhsa.version:
  - 1
  - 2
...

	.end_amdgpu_metadata
